;; amdgpu-corpus repo=ROCm/rocFFT kind=compiled arch=gfx1030 opt=O3
	.text
	.amdgcn_target "amdgcn-amd-amdhsa--gfx1030"
	.amdhsa_code_object_version 6
	.protected	bluestein_single_fwd_len11_dim1_half_op_CI_CI ; -- Begin function bluestein_single_fwd_len11_dim1_half_op_CI_CI
	.globl	bluestein_single_fwd_len11_dim1_half_op_CI_CI
	.p2align	8
	.type	bluestein_single_fwd_len11_dim1_half_op_CI_CI,@function
bluestein_single_fwd_len11_dim1_half_op_CI_CI: ; @bluestein_single_fwd_len11_dim1_half_op_CI_CI
; %bb.0:
	s_load_dwordx4 s[12:15], s[4:5], 0x28
	v_lshl_or_b32 v13, s6, 7, v0
	v_mov_b32_e32 v14, 0
	s_mov_b32 s0, exec_lo
	s_waitcnt lgkmcnt(0)
	v_cmpx_gt_u64_e64 s[12:13], v[13:14]
	s_cbranch_execz .LBB0_2
; %bb.1:
	s_clause 0x1
	s_load_dwordx4 s[0:3], s[4:5], 0x18
	s_load_dwordx2 s[6:7], s[4:5], 0x0
	v_mul_u32_u24_e32 v0, 44, v0
	s_waitcnt lgkmcnt(0)
	s_load_dwordx4 s[8:11], s[0:1], 0x0
	s_clause 0x1
	global_load_dwordx4 v[9:12], v14, s[6:7]
	global_load_dwordx4 v[5:8], v14, s[6:7] offset:16
	s_waitcnt lgkmcnt(0)
	v_mad_u64_u32 v[1:2], null, s10, v13, 0
	s_lshl_b64 s[0:1], s[8:9], 2
	s_lshl_b64 s[12:13], s[8:9], 4
	v_mad_u64_u32 v[2:3], null, s11, v13, v[2:3]
	s_lshl_b64 s[10:11], s[8:9], 3
	v_lshlrev_b64 v[15:16], 2, v[1:2]
	global_load_dwordx4 v[1:4], v14, s[6:7] offset:32
	v_add_co_u32 v15, vcc_lo, s14, v15
	v_add_co_ci_u32_e32 v16, vcc_lo, s15, v16, vcc_lo
	s_lshl_b64 s[14:15], s[8:9], 5
	v_add_co_u32 v17, vcc_lo, v15, s0
	v_add_co_ci_u32_e32 v18, vcc_lo, s1, v16, vcc_lo
	v_add_co_u32 v19, vcc_lo, v15, s10
	v_mad_u64_u32 v[21:22], null, s8, 12, v[15:16]
	v_add_co_ci_u32_e32 v20, vcc_lo, s11, v16, vcc_lo
	v_add_co_u32 v23, vcc_lo, v15, s12
	v_add_co_ci_u32_e32 v24, vcc_lo, s13, v16, vcc_lo
	v_add_co_u32 v31, vcc_lo, v15, s14
	v_add_co_ci_u32_e32 v32, vcc_lo, s15, v16, vcc_lo
	s_clause 0x4
	global_load_dword v37, v[15:16], off
	global_load_dword v38, v[17:18], off
	;; [unrolled: 1-line block ×5, first 2 shown]
	v_mad_u64_u32 v[17:18], null, s9, 12, v[22:23]
	v_mad_u64_u32 v[25:26], null, s8, 20, v[15:16]
	;; [unrolled: 1-line block ×4, first 2 shown]
	v_mov_b32_e32 v22, v17
	v_mad_u64_u32 v[33:34], null, s8, 36, v[15:16]
	v_mad_u64_u32 v[35:36], null, s8, 40, v[15:16]
	global_load_dword v21, v[21:22], off
	v_mov_b32_e32 v15, v26
	v_mov_b32_e32 v16, v28
	;; [unrolled: 1-line block ×4, first 2 shown]
	s_mov_b32 s12, 0x745d1746
	v_mov_b32_e32 v20, v36
	v_mad_u64_u32 v[23:24], null, s9, 20, v[15:16]
	v_mad_u64_u32 v[15:16], null, s9, 24, v[16:17]
	;; [unrolled: 1-line block ×4, first 2 shown]
	v_mov_b32_e32 v26, v23
	s_mov_b32 s13, 0x3fb745d1
	v_mov_b32_e32 v28, v15
	v_mov_b32_e32 v30, v16
	global_load_dword v15, v[25:26], off
	v_mov_b32_e32 v34, v17
	s_clause 0x1
	global_load_dword v16, v[29:30], off
	global_load_dword v17, v[27:28], off
	s_waitcnt vmcnt(11)
	v_lshrrev_b32_e32 v28, 16, v10
	v_and_b32_e32 v22, 0xffff, v9
	v_lshrrev_b32_e32 v27, 16, v12
	v_and_b32_e32 v29, 0xffff, v11
	s_waitcnt vmcnt(10)
	v_lshrrev_b32_e32 v26, 16, v6
	v_and_b32_e32 v32, 0xffff, v5
	v_lshl_or_b32 v22, v10, 16, v22
	v_lshrrev_b32_e32 v25, 16, v8
	v_lshl_or_b32 v29, v12, 16, v29
	v_lshl_or_b32 v32, v6, 16, v32
	s_waitcnt vmcnt(9)
	v_lshrrev_b32_e32 v24, 16, v2
	s_waitcnt vmcnt(8)
	v_mul_f16_sdwa v43, v9, v37 dst_sel:DWORD dst_unused:UNUSED_PAD src0_sel:WORD_1 src1_sel:WORD_1
	s_waitcnt vmcnt(7)
	v_bfi_b32 v41, 0xffff, v37, v38
	v_alignbit_b32 v42, v38, v37, 16
	v_lshrrev_b32_e32 v44, 16, v38
	v_mul_f16_e32 v38, v28, v38
	v_fmac_f16_e32 v43, v9, v37
	v_fma_f16 v37, v10, v44, -v38
	s_waitcnt vmcnt(6)
	v_mul_f16_sdwa v38, v11, v39 dst_sel:DWORD dst_unused:UNUSED_PAD src0_sel:WORD_1 src1_sel:WORD_1
	v_fmac_f16_e32 v38, v11, v39
	s_waitcnt vmcnt(3)
	v_mad_u64_u32 v[18:19], null, s9, 40, v[20:21]
	v_mov_b32_e32 v20, 0xffff
	v_and_b32_sdwa v23, v20, v9 dst_sel:DWORD dst_unused:UNUSED_PAD src0_sel:DWORD src1_sel:WORD_1
	v_mov_b32_e32 v36, v18
	s_clause 0x1
	global_load_dword v18, v[33:34], off
	global_load_dword v19, v[35:36], off
	v_lshl_or_b32 v23, v28, 16, v23
	v_and_b32_sdwa v30, v20, v11 dst_sel:DWORD dst_unused:UNUSED_PAD src0_sel:DWORD src1_sel:WORD_1
	v_and_b32_sdwa v33, v20, v5 dst_sel:DWORD dst_unused:UNUSED_PAD src0_sel:DWORD src1_sel:WORD_1
	v_and_b32_e32 v34, 0xffff, v7
	v_and_b32_sdwa v35, v20, v7 dst_sel:DWORD dst_unused:UNUSED_PAD src0_sel:DWORD src1_sel:WORD_1
	v_pk_mul_f16 v23, v23, v41
	v_pk_mul_f16 v41, v22, v42
	v_and_b32_e32 v36, 0xffff, v1
	v_and_b32_sdwa v20, v20, v1 dst_sel:DWORD dst_unused:UNUSED_PAD src0_sel:DWORD src1_sel:WORD_1
	v_lshl_or_b32 v30, v27, 16, v30
	v_pk_fma_f16 v22, v22, v42, v23
	v_sub_f16_e32 v23, v41, v23
	v_mul_f16_sdwa v41, v5, v40 dst_sel:DWORD dst_unused:UNUSED_PAD src0_sel:WORD_1 src1_sel:WORD_1
	v_mul_f16_sdwa v42, v1, v31 dst_sel:DWORD dst_unused:UNUSED_PAD src0_sel:WORD_1 src1_sel:WORD_1
	v_lshl_or_b32 v33, v26, 16, v33
	v_alignbit_b32 v22, v37, v22, 16
	v_pack_b32_f16 v23, v43, v23
	v_alignbit_b32 v37, v21, v39, 16
	v_fmac_f16_e32 v41, v5, v40
	s_waitcnt vmcnt(4)
	v_bfi_b32 v43, 0xffff, v40, v15
	v_alignbit_b32 v40, v15, v40, 16
	ds_write2_b32 v0, v23, v22 offset1:1
	v_bfi_b32 v23, 0xffff, v39, v21
	v_lshrrev_b32_e32 v22, 16, v21
	v_mul_f16_e32 v21, v27, v21
	v_lshl_or_b32 v34, v8, 16, v34
	v_lshl_or_b32 v35, v25, 16, v35
	s_waitcnt vmcnt(2)
	v_bfi_b32 v45, 0xffff, v17, v16
	v_alignbit_b32 v46, v16, v17, 16
	v_mul_f16_sdwa v47, v7, v17 dst_sel:DWORD dst_unused:UNUSED_PAD src0_sel:WORD_1 src1_sel:WORD_1
	v_lshl_or_b32 v36, v2, 16, v36
	v_lshl_or_b32 v20, v24, 16, v20
	v_fmac_f16_e32 v42, v1, v31
	v_lshrrev_b32_e32 v39, 16, v15
	v_mul_f16_e32 v15, v26, v15
	v_pk_mul_f16 v52, v29, v37
	v_pk_mul_f16 v23, v30, v23
	v_fma_f16 v21, v12, v22, -v21
	v_pk_mul_f16 v22, v32, v40
	v_pk_mul_f16 v30, v33, v43
	v_lshrrev_b32_e32 v44, 16, v16
	v_mul_f16_e32 v16, v25, v16
	v_fmac_f16_e32 v47, v7, v17
	v_pk_mul_f16 v17, v34, v46
	v_pk_mul_f16 v33, v35, v45
	v_fma_f16 v15, v6, v39, -v15
	v_pk_fma_f16 v29, v29, v37, v23
	v_sub_f16_e32 v23, v52, v23
	v_pk_fma_f16 v32, v32, v40, v30
	v_sub_f16_e32 v22, v22, v30
	v_fma_f16 v16, v8, v44, -v16
	v_pk_fma_f16 v30, v34, v46, v33
	v_sub_f16_e32 v17, v17, v33
	v_alignbit_b32 v15, v15, v32, 16
	v_pack_b32_f16 v22, v41, v22
	s_load_dwordx4 s[8:11], s[2:3], 0x0
	v_alignbit_b32 v16, v16, v30, 16
	v_pack_b32_f16 v17, v47, v17
	s_waitcnt vmcnt(1)
	v_bfi_b32 v49, 0xffff, v31, v18
	v_alignbit_b32 v31, v18, v31, 16
	s_waitcnt vmcnt(0)
	v_lshrrev_b32_e32 v50, 16, v19
	v_lshrrev_b32_e32 v48, 16, v18
	v_mul_f16_e32 v18, v24, v18
	v_pk_mul_f16 v20, v20, v49
	v_pk_mul_f16 v35, v36, v31
	v_mul_f16_sdwa v51, v3, v19 dst_sel:DWORD dst_unused:UNUSED_PAD src0_sel:WORD_1 src1_sel:DWORD
	v_mul_f16_sdwa v39, v3, v50 dst_sel:DWORD dst_unused:UNUSED_PAD src0_sel:WORD_1 src1_sel:DWORD
	v_fma_f16 v18, v2, v48, -v18
	v_pk_fma_f16 v31, v36, v31, v20
	v_sub_f16_e32 v20, v35, v20
	v_fma_f16 v43, v3, v50, -v51
	v_fmac_f16_e32 v39, v3, v19
	v_alignbit_b32 v19, v21, v29, 16
	v_pack_b32_f16 v21, v38, v23
	v_alignbit_b32 v18, v18, v31, 16
	v_pack_b32_f16 v20, v42, v20
	v_pack_b32_f16 v23, v39, v43
	ds_write2_b32 v0, v21, v19 offset0:2 offset1:3
	ds_write2_b32 v0, v22, v15 offset0:4 offset1:5
	;; [unrolled: 1-line block ×4, first 2 shown]
	ds_write_b32 v0, v23 offset:40
	s_waitcnt lgkmcnt(0)
	s_barrier
	buffer_gl0_inv
	ds_read2_b32 v[29:30], v0 offset0:1 offset1:2
	ds_read2_b32 v[15:16], v0 offset0:9 offset1:10
	;; [unrolled: 1-line block ×5, first 2 shown]
	ds_read_b32 v23, v0
	s_waitcnt lgkmcnt(4)
	v_add_f16_e32 v31, v16, v29
	v_add_f16_sdwa v32, v16, v29 dst_sel:DWORD dst_unused:UNUSED_PAD src0_sel:WORD_1 src1_sel:WORD_1
	v_sub_f16_e32 v33, v29, v16
	v_sub_f16_sdwa v34, v29, v16 dst_sel:DWORD dst_unused:UNUSED_PAD src0_sel:WORD_1 src1_sel:WORD_1
	s_waitcnt lgkmcnt(0)
	v_add_f16_e32 v49, v29, v23
	v_add_f16_sdwa v29, v29, v23 dst_sel:DWORD dst_unused:UNUSED_PAD src0_sel:WORD_1 src1_sel:WORD_1
	v_add_f16_e32 v35, v15, v30
	v_sub_f16_e32 v37, v30, v15
	v_sub_f16_sdwa v38, v30, v15 dst_sel:DWORD dst_unused:UNUSED_PAD src0_sel:WORD_1 src1_sel:WORD_1
	v_add_f16_e32 v39, v18, v21
	v_sub_f16_e32 v41, v21, v18
	v_sub_f16_sdwa v42, v21, v18 dst_sel:DWORD dst_unused:UNUSED_PAD src0_sel:WORD_1 src1_sel:WORD_1
	;; [unrolled: 3-line block ×4, first 2 shown]
	v_add_f16_e32 v49, v49, v30
	v_add_f16_sdwa v29, v29, v30 dst_sel:DWORD dst_unused:UNUSED_PAD src0_sel:DWORD src1_sel:WORD_1
	v_add_f16_sdwa v36, v15, v30 dst_sel:DWORD dst_unused:UNUSED_PAD src0_sel:WORD_1 src1_sel:WORD_1
	v_mul_f16_e32 v30, 0xb853, v33
	v_mul_f16_e32 v54, 0xbb47, v33
	;; [unrolled: 1-line block ×4, first 2 shown]
	v_pack_b32_f16 v33, v33, v31
	v_add_f16_sdwa v40, v18, v21 dst_sel:DWORD dst_unused:UNUSED_PAD src0_sel:WORD_1 src1_sel:WORD_1
	v_add_f16_sdwa v44, v17, v22 dst_sel:DWORD dst_unused:UNUSED_PAD src0_sel:WORD_1 src1_sel:WORD_1
	;; [unrolled: 1-line block ×3, first 2 shown]
	v_mul_f16_e32 v52, 0xb853, v34
	v_mul_f16_e32 v53, 0xbb47, v34
	v_mul_f16_e32 v55, 0xbbeb, v34
	v_mul_f16_e32 v57, 0xba0c, v34
	v_mul_f16_e32 v59, 0xbb47, v38
	v_mul_f16_e32 v60, 0xba0c, v38
	v_mul_f16_e32 v61, 0x3482, v38
	v_mul_f16_e32 v62, 0x3beb, v38
	v_pack_b32_f16 v63, v37, v35
	v_mul_f16_e32 v64, 0xbb47, v37
	v_mul_f16_e32 v65, 0xba0c, v37
	v_mul_f16_e32 v66, 0x3482, v37
	v_mul_f16_e32 v37, 0x3beb, v37
	v_mul_f16_e32 v67, 0xbbeb, v42
	v_mul_f16_e32 v68, 0x3482, v42
	v_mul_f16_e32 v69, 0x3b47, v42
	v_mul_f16_e32 v70, 0xb853, v42
	v_pack_b32_f16 v71, v41, v39
	;; [unrolled: 9-line block ×4, first 2 shown]
	v_mul_f16_e32 v88, 0xb482, v50
	v_mul_f16_e32 v89, 0x3853, v50
	;; [unrolled: 1-line block ×4, first 2 shown]
	v_add_f16_e32 v49, v49, v21
	v_add_f16_sdwa v21, v29, v21 dst_sel:DWORD dst_unused:UNUSED_PAD src0_sel:DWORD src1_sel:WORD_1
	v_pack_b32_f16 v34, v32, v34
	v_pk_mul_f16 v33, 0xbbadb482, v33
	v_pack_b32_f16 v38, v36, v38
	v_pack_b32_f16 v42, v40, v42
	;; [unrolled: 1-line block ×4, first 2 shown]
	v_fma_f16 v29, v31, 0x3abb, -v52
	v_fmamk_f16 v91, v32, 0x3abb, v30
	v_fmac_f16_e32 v52, 0x3abb, v31
	v_fma_f16 v30, v32, 0x3abb, -v30
	v_fma_f16 v92, v31, 0x36a6, -v53
	v_fmamk_f16 v93, v32, 0x36a6, v54
	v_fmac_f16_e32 v53, 0x36a6, v31
	v_fma_f16 v54, v32, 0x36a6, -v54
	;; [unrolled: 4-line block ×3, first 2 shown]
	v_fma_f16 v96, v31, 0xb93d, -v57
	v_fmac_f16_e32 v57, 0xb93d, v31
	v_fmamk_f16 v31, v32, 0xb93d, v58
	v_fma_f16 v32, v32, 0xb93d, -v58
	v_fma_f16 v58, v35, 0x36a6, -v59
	v_fmac_f16_e32 v59, 0x36a6, v35
	v_fma_f16 v97, v35, 0xb93d, -v60
	v_fmac_f16_e32 v60, 0xb93d, v35
	v_fma_f16 v98, v35, 0xbbad, -v61
	v_fmac_f16_e32 v61, 0xbbad, v35
	v_fma_f16 v99, v35, 0xb08e, -v62
	v_fmac_f16_e32 v62, 0xb08e, v35
	v_fmamk_f16 v35, v36, 0x36a6, v64
	v_fma_f16 v64, v36, 0x36a6, -v64
	v_fmamk_f16 v100, v36, 0xb93d, v65
	v_fma_f16 v65, v36, 0xb93d, -v65
	v_fmamk_f16 v101, v36, 0xbbad, v66
	v_fma_f16 v66, v36, 0xbbad, -v66
	v_fmamk_f16 v102, v36, 0xb08e, v37
	v_fma_f16 v36, v36, 0xb08e, -v37
	v_fma_f16 v37, v39, 0xb08e, -v67
	v_fmac_f16_e32 v67, 0xb08e, v39
	v_fma_f16 v103, v39, 0xbbad, -v68
	v_fmac_f16_e32 v68, 0xbbad, v39
	v_fma_f16 v104, v39, 0x36a6, -v69
	v_fmac_f16_e32 v69, 0x36a6, v39
	v_fma_f16 v105, v39, 0x3abb, -v70
	v_fmac_f16_e32 v70, 0x3abb, v39
	v_fmamk_f16 v39, v40, 0xb08e, v72
	v_fma_f16 v72, v40, 0xb08e, -v72
	v_fmamk_f16 v106, v40, 0xbbad, v73
	v_fma_f16 v73, v40, 0xbbad, -v73
	v_fmamk_f16 v107, v40, 0x36a6, v74
	v_fma_f16 v74, v40, 0x36a6, -v74
	;; [unrolled: 16-line block ×4, first 2 shown]
	v_fmamk_f16 v120, v48, 0x36a6, v50
	v_fma_f16 v48, v48, 0x36a6, -v50
	v_pk_mul_f16 v50, 0x3abb3853, v63
	v_pk_mul_f16 v63, 0xb93dba0c, v71
	;; [unrolled: 1-line block ×4, first 2 shown]
	v_add_f16_e32 v49, v49, v22
	v_add_f16_sdwa v21, v21, v22 dst_sel:DWORD dst_unused:UNUSED_PAD src0_sel:DWORD src1_sel:WORD_1
	v_pk_fma_f16 v22, 0xb482bbad, v34, v33 neg_lo:[0,1,0] neg_hi:[0,1,0]
	v_pk_fma_f16 v87, 0xb482bbad, v34, v33
	v_pk_fma_f16 v33, 0xb482bbad, v34, v33 neg_lo:[0,0,1] neg_hi:[0,0,1]
	v_pk_fma_f16 v34, 0x38533abb, v38, v50 neg_lo:[0,1,0] neg_hi:[0,1,0]
	v_pk_fma_f16 v121, 0x38533abb, v38, v50
	v_pk_fma_f16 v38, 0x38533abb, v38, v50 neg_lo:[0,0,1] neg_hi:[0,0,1]
	;; [unrolled: 3-line block ×5, first 2 shown]
	v_add_f16_e32 v29, v29, v23
	v_add_f16_sdwa v79, v91, v23 dst_sel:DWORD dst_unused:UNUSED_PAD src0_sel:DWORD src1_sel:WORD_1
	v_add_f16_e32 v52, v52, v23
	v_add_f16_sdwa v30, v30, v23 dst_sel:DWORD dst_unused:UNUSED_PAD src0_sel:DWORD src1_sel:WORD_1
	v_add_f16_sdwa v32, v32, v23 dst_sel:DWORD dst_unused:UNUSED_PAD src0_sel:DWORD src1_sel:WORD_1
	v_add_f16_e32 v49, v49, v19
	v_add_f16_sdwa v19, v21, v19 dst_sel:DWORD dst_unused:UNUSED_PAD src0_sel:DWORD src1_sel:WORD_1
	v_add_f16_e32 v91, v92, v23
	;; [unrolled: 2-line block ×7, first 2 shown]
	v_pk_add_f16 v21, v22, v23 op_sel:[0,1] op_sel_hi:[1,0]
	v_pk_add_f16 v22, v87, v23 op_sel:[0,1] op_sel_hi:[1,0]
	v_pk_add_f16 v23, v33, v23 op_sel:[0,1] op_sel_hi:[1,0]
	v_add_f16_e32 v29, v58, v29
	v_add_f16_e32 v33, v35, v79
	;; [unrolled: 1-line block ×6, first 2 shown]
	v_add_f16_sdwa v19, v19, v20 dst_sel:DWORD dst_unused:UNUSED_PAD src0_sel:DWORD src1_sel:WORD_1
	v_add_f16_e32 v52, v97, v91
	v_add_f16_e32 v58, v100, v92
	v_add_f16_e32 v53, v60, v53
	v_add_f16_e32 v54, v65, v54
	v_add_f16_e32 v59, v98, v93
	v_add_f16_e32 v60, v101, v94
	v_add_f16_e32 v55, v61, v55
	v_add_f16_e32 v56, v66, v56
	v_add_f16_e32 v61, v99, v95
	v_add_f16_e32 v31, v102, v31
	v_add_f16_e32 v57, v62, v57
	v_pk_add_f16 v20, v34, v21
	v_pk_add_f16 v21, v121, v22
	v_pk_add_f16 v22, v38, v23
	v_add_f16_e32 v23, v37, v29
	v_add_f16_e32 v29, v39, v33
	v_add_f16_e32 v33, v67, v35
	v_add_f16_e32 v30, v72, v30
	v_add_f16_e32 v36, v36, v17
	v_add_f16_sdwa v17, v19, v17 dst_sel:DWORD dst_unused:UNUSED_PAD src0_sel:DWORD src1_sel:WORD_1
	v_add_f16_e32 v34, v103, v52
	v_add_f16_e32 v35, v106, v58
	v_add_f16_e32 v37, v68, v53
	v_add_f16_e32 v38, v73, v54
	v_add_f16_e32 v39, v104, v59
	v_add_f16_e32 v49, v107, v60
	v_add_f16_e32 v52, v69, v55
	v_add_f16_e32 v53, v74, v56
	v_add_f16_e32 v54, v105, v61
	v_add_f16_e32 v31, v108, v31
	v_add_f16_e32 v55, v70, v57
	v_add_f16_e32 v32, v40, v32
	v_pk_add_f16 v19, v50, v20
	v_pk_add_f16 v20, v122, v21
	v_pk_add_f16 v21, v42, v22
	v_add_f16_e32 v22, v41, v23
	v_add_f16_e32 v23, v43, v29
	v_add_f16_e32 v29, v75, v33
	v_add_f16_e32 v30, v80, v30
	v_add_f16_e32 v36, v36, v18
	v_add_f16_sdwa v17, v17, v18 dst_sel:DWORD dst_unused:UNUSED_PAD src0_sel:DWORD src1_sel:WORD_1
	v_add_f16_e32 v33, v109, v34
	;; [unrolled: 21-line block ×3, first 2 shown]
	v_add_f16_e32 v33, v118, v34
	v_add_f16_e32 v34, v84, v35
	;; [unrolled: 1-line block ×11, first 2 shown]
	v_pk_add_f16 v17, v71, v18
	v_pk_add_f16 v18, v124, v19
	;; [unrolled: 1-line block ×3, first 2 shown]
	v_pack_b32_f16 v23, v23, v29
	v_add_f16_e32 v29, v36, v16
	v_add_f16_sdwa v15, v15, v16 dst_sel:WORD_1 dst_unused:UNUSED_PAD src0_sel:DWORD src1_sel:WORD_1
	v_pack_b32_f16 v20, v30, v33
	v_pack_b32_f16 v21, v21, v22
	;; [unrolled: 1-line block ×7, first 2 shown]
	v_alignbit_b32 v19, v19, v18, 16
	v_alignbit_b32 v17, v18, v17, 16
	v_or_b32_sdwa v15, v15, v29 dst_sel:DWORD dst_unused:UNUSED_PAD src0_sel:DWORD src1_sel:WORD_0
	ds_write2_b32 v0, v21, v20 offset0:1 offset1:2
	ds_write2_b32 v0, v30, v22 offset0:3 offset1:4
	;; [unrolled: 1-line block ×5, first 2 shown]
	ds_write_b32 v0, v15
	s_waitcnt lgkmcnt(0)
	s_barrier
	buffer_gl0_inv
	s_clause 0x2
	global_load_dwordx4 v[15:18], v14, s[6:7] offset:48
	global_load_dwordx4 v[19:22], v14, s[6:7] offset:64
	global_load_dwordx2 v[29:30], v14, s[6:7] offset:80
	ds_read2_b32 v[31:32], v0 offset1:1
	ds_read2_b32 v[33:34], v0 offset0:2 offset1:3
	ds_read2_b32 v[35:36], v0 offset0:4 offset1:5
	;; [unrolled: 1-line block ×4, first 2 shown]
	ds_read_b32 v14, v0 offset:40
	s_waitcnt lgkmcnt(5)
	v_lshrrev_b32_e32 v23, 16, v31
	v_mul_f16_sdwa v42, v31, v4 dst_sel:DWORD dst_unused:UNUSED_PAD src0_sel:DWORD src1_sel:WORD_1
	v_lshrrev_b32_e32 v41, 16, v32
	s_waitcnt lgkmcnt(4)
	v_lshrrev_b32_e32 v43, 16, v33
	v_lshrrev_b32_e32 v44, 16, v34
	v_mul_f16_sdwa v45, v23, v4 dst_sel:DWORD dst_unused:UNUSED_PAD src0_sel:DWORD src1_sel:WORD_1
	v_fmac_f16_e32 v42, v23, v4
	s_waitcnt lgkmcnt(3)
	v_lshrrev_b32_e32 v46, 16, v35
	v_lshrrev_b32_e32 v47, 16, v36
	s_waitcnt lgkmcnt(2)
	v_lshrrev_b32_e32 v48, 16, v37
	v_fma_f16 v4, v31, v4, -v45
	v_lshrrev_b32_e32 v23, 16, v38
	s_waitcnt lgkmcnt(1)
	v_lshrrev_b32_e32 v31, 16, v39
	v_lshrrev_b32_e32 v45, 16, v40
	s_waitcnt lgkmcnt(0)
	v_lshrrev_b32_e32 v49, 16, v14
	v_pack_b32_f16 v4, v4, v42
	s_waitcnt vmcnt(2)
	v_mul_f16_sdwa v42, v41, v15 dst_sel:DWORD dst_unused:UNUSED_PAD src0_sel:DWORD src1_sel:WORD_1
	v_mul_f16_sdwa v50, v32, v15 dst_sel:DWORD dst_unused:UNUSED_PAD src0_sel:DWORD src1_sel:WORD_1
	;; [unrolled: 1-line block ×8, first 2 shown]
	s_waitcnt vmcnt(1)
	v_mul_f16_sdwa v57, v47, v19 dst_sel:DWORD dst_unused:UNUSED_PAD src0_sel:DWORD src1_sel:WORD_1
	v_mul_f16_sdwa v58, v36, v19 dst_sel:DWORD dst_unused:UNUSED_PAD src0_sel:DWORD src1_sel:WORD_1
	;; [unrolled: 1-line block ×8, first 2 shown]
	s_waitcnt vmcnt(0)
	v_mul_f16_sdwa v65, v45, v29 dst_sel:DWORD dst_unused:UNUSED_PAD src0_sel:DWORD src1_sel:WORD_1
	v_mul_f16_sdwa v66, v40, v29 dst_sel:DWORD dst_unused:UNUSED_PAD src0_sel:DWORD src1_sel:WORD_1
	;; [unrolled: 1-line block ×4, first 2 shown]
	v_fma_f16 v32, v32, v15, -v42
	v_fmac_f16_e32 v50, v41, v15
	v_fma_f16 v33, v33, v16, -v51
	v_fma_f16 v34, v34, v17, -v53
	v_fmac_f16_e32 v52, v43, v16
	v_fmac_f16_e32 v54, v44, v17
	;; [unrolled: 1-line block ×3, first 2 shown]
	v_fma_f16 v15, v35, v18, -v55
	v_fma_f16 v16, v36, v19, -v57
	v_fmac_f16_e32 v58, v47, v19
	v_fma_f16 v17, v37, v20, -v59
	v_fmac_f16_e32 v60, v48, v20
	;; [unrolled: 2-line block ×6, first 2 shown]
	v_pack_b32_f16 v21, v32, v50
	v_pack_b32_f16 v22, v34, v54
	;; [unrolled: 1-line block ×10, first 2 shown]
	ds_write2_b32 v0, v4, v21 offset1:1
	ds_write2_b32 v0, v23, v22 offset0:2 offset1:3
	ds_write2_b32 v0, v15, v16 offset0:4 offset1:5
	;; [unrolled: 1-line block ×4, first 2 shown]
	ds_write_b32 v0, v14 offset:40
	s_waitcnt lgkmcnt(0)
	s_barrier
	buffer_gl0_inv
	ds_read2_b32 v[18:19], v0 offset0:5 offset1:6
	ds_read_b32 v4, v0
	ds_read2_b32 v[22:23], v0 offset0:1 offset1:2
	ds_read2_b32 v[14:15], v0 offset0:9 offset1:10
	;; [unrolled: 1-line block ×4, first 2 shown]
	v_mov_b32_e32 v29, 0xb853
	v_mov_b32_e32 v30, 0x3abb
	;; [unrolled: 1-line block ×14, first 2 shown]
	s_waitcnt lgkmcnt(5)
	v_alignbit_b32 v43, v19, v18, 16
	v_alignbit_b32 v53, v18, v19, 16
	s_waitcnt lgkmcnt(3)
	v_add_f16_e32 v44, v22, v4
	v_add_f16_sdwa v45, v22, v4 dst_sel:DWORD dst_unused:UNUSED_PAD src0_sel:WORD_1 src1_sel:WORD_1
	s_waitcnt lgkmcnt(2)
	v_pk_add_f16 v46, v15, v22
	v_pk_add_f16 v22, v22, v15 neg_lo:[0,1] neg_hi:[0,1]
	v_pk_add_f16 v47, v14, v23
	v_pk_add_f16 v48, v23, v14 neg_lo:[0,1] neg_hi:[0,1]
	v_add_f16_e32 v44, v44, v23
	v_add_f16_sdwa v23, v45, v23 dst_sel:DWORD dst_unused:UNUSED_PAD src0_sel:DWORD src1_sel:WORD_1
	s_waitcnt lgkmcnt(0)
	v_pk_add_f16 v49, v17, v20
	v_pk_add_f16 v50, v20, v17 neg_lo:[0,1] neg_hi:[0,1]
	v_pk_add_f16 v51, v16, v21
	v_pk_add_f16 v52, v21, v16 neg_lo:[0,1] neg_hi:[0,1]
	v_pk_add_f16 v54, v18, v19 neg_lo:[0,1] neg_hi:[0,1]
	v_mul_f16_sdwa v45, v22, v29 dst_sel:DWORD dst_unused:UNUSED_PAD src0_sel:WORD_1 src1_sel:DWORD
	v_mul_f16_sdwa v55, v46, v30 dst_sel:DWORD dst_unused:UNUSED_PAD src0_sel:WORD_1 src1_sel:DWORD
	;; [unrolled: 1-line block ×8, first 2 shown]
	v_pk_mul_f16 v62, 0xbbad, v46 op_sel_hi:[0,1]
	v_add_f16_e32 v44, v44, v20
	v_add_f16_sdwa v20, v23, v20 dst_sel:DWORD dst_unused:UNUSED_PAD src0_sel:DWORD src1_sel:WORD_1
	v_mul_f16_sdwa v33, v48, v33 dst_sel:DWORD dst_unused:UNUSED_PAD src0_sel:WORD_1 src1_sel:DWORD
	v_pk_add_f16 v43, v43, v53
	v_mul_f16_sdwa v53, v48, v31 dst_sel:DWORD dst_unused:UNUSED_PAD src0_sel:WORD_1 src1_sel:DWORD
	v_mul_f16_sdwa v63, v48, v37 dst_sel:DWORD dst_unused:UNUSED_PAD src0_sel:WORD_1 src1_sel:DWORD
	;; [unrolled: 1-line block ×7, first 2 shown]
	v_pk_mul_f16 v69, 0x3abb, v47 op_sel_hi:[0,1]
	v_mul_f16_sdwa v34, v50, v34 dst_sel:DWORD dst_unused:UNUSED_PAD src0_sel:WORD_1 src1_sel:DWORD
	v_mul_f16_sdwa v37, v50, v37 dst_sel:DWORD dst_unused:UNUSED_PAD src0_sel:WORD_1 src1_sel:DWORD
	;; [unrolled: 1-line block ×8, first 2 shown]
	v_pk_mul_f16 v75, 0xb93d, v49 op_sel_hi:[0,1]
	v_mul_f16_sdwa v36, v51, v36 dst_sel:DWORD dst_unused:UNUSED_PAD src0_sel:WORD_1 src1_sel:DWORD
	v_mul_f16_sdwa v38, v52, v38 dst_sel:DWORD dst_unused:UNUSED_PAD src0_sel:WORD_1 src1_sel:DWORD
	v_mul_f16_sdwa v35, v51, v35 dst_sel:DWORD dst_unused:UNUSED_PAD src0_sel:WORD_1 src1_sel:DWORD
	v_mul_f16_sdwa v29, v52, v29 dst_sel:DWORD dst_unused:UNUSED_PAD src0_sel:WORD_1 src1_sel:DWORD
	v_mul_f16_sdwa v30, v51, v30 dst_sel:DWORD dst_unused:UNUSED_PAD src0_sel:WORD_1 src1_sel:DWORD
	v_mul_f16_sdwa v39, v51, v39 dst_sel:DWORD dst_unused:UNUSED_PAD src0_sel:WORD_1 src1_sel:DWORD
	v_mul_f16_sdwa v76, v52, v31 dst_sel:DWORD dst_unused:UNUSED_PAD src0_sel:WORD_1 src1_sel:DWORD
	v_mul_f16_sdwa v77, v52, v41 dst_sel:DWORD dst_unused:UNUSED_PAD src0_sel:WORD_1 src1_sel:DWORD
	v_pk_mul_f16 v78, 0x36a6, v51 op_sel_hi:[0,1]
	v_pk_mul_f16 v79, 0xbbeb, v54 op_sel_hi:[0,1]
	v_fmamk_f16 v23, v46, 0x3abb, v45
	v_fmamk_f16 v80, v22, 0x3853, v55
	v_fma_f16 v45, v46, 0x3abb, -v45
	v_fmac_f16_e32 v55, 0xb853, v22
	v_fmamk_f16 v81, v46, 0x36a6, v56
	v_fmamk_f16 v82, v22, 0x3b47, v57
	v_fma_f16 v56, v46, 0x36a6, -v56
	v_fmamk_f16 v83, v46, 0xb08e, v58
	v_fmamk_f16 v84, v22, 0x3beb, v59
	v_fma_f16 v58, v46, 0xb08e, -v58
	v_fmac_f16_e32 v59, 0xbbeb, v22
	v_fmamk_f16 v85, v46, 0xb93d, v60
	v_fmamk_f16 v86, v22, 0x3a0c, v61
	v_fma_f16 v46, v46, 0xb93d, -v60
	v_fmac_f16_e32 v61, 0xba0c, v22
	v_pk_fma_f16 v60, 0xb482, v22, v62 op_sel:[0,0,1] op_sel_hi:[0,1,0]
	v_add_f16_e32 v44, v44, v21
	v_add_f16_sdwa v20, v20, v21 dst_sel:DWORD dst_unused:UNUSED_PAD src0_sel:DWORD src1_sel:WORD_1
	v_fmac_f16_e32 v57, 0xbb47, v22
	v_pk_fma_f16 v22, 0xb482, v22, v62 op_sel:[0,0,1] op_sel_hi:[0,1,0] neg_lo:[0,1,0] neg_hi:[0,1,0]
	v_mul_f16_sdwa v41, v54, v41 dst_sel:DWORD dst_unused:UNUSED_PAD src0_sel:WORD_1 src1_sel:DWORD
	v_mul_f16_sdwa v42, v54, v42 dst_sel:DWORD dst_unused:UNUSED_PAD src0_sel:WORD_1 src1_sel:DWORD
	;; [unrolled: 1-line block ×4, first 2 shown]
	v_fmamk_f16 v62, v47, 0x36a6, v33
	v_fma_f16 v33, v47, 0x36a6, -v33
	v_fmamk_f16 v87, v47, 0xb93d, v53
	v_fma_f16 v53, v47, 0xb93d, -v53
	v_fmamk_f16 v88, v47, 0xbbad, v63
	v_fma_f16 v63, v47, 0xbbad, -v63
	v_fmamk_f16 v89, v47, 0xb08e, v64
	v_fma_f16 v47, v47, 0xb08e, -v64
	v_fmamk_f16 v64, v48, 0x3b47, v65
	v_fmac_f16_e32 v65, 0xbb47, v48
	v_fmamk_f16 v90, v48, 0x3a0c, v66
	v_fmac_f16_e32 v66, 0xba0c, v48
	v_fmamk_f16 v91, v48, 0xb482, v67
	v_fmac_f16_e32 v67, 0x3482, v48
	v_fmamk_f16 v92, v48, 0xbbeb, v68
	v_fmac_f16_e32 v68, 0x3beb, v48
	v_pk_fma_f16 v93, 0x3853, v48, v69 op_sel:[0,0,1] op_sel_hi:[0,1,0]
	v_pk_fma_f16 v48, 0x3853, v48, v69 op_sel:[0,0,1] op_sel_hi:[0,1,0] neg_lo:[0,1,0] neg_hi:[0,1,0]
	v_fmamk_f16 v69, v49, 0xb08e, v34
	v_fma_f16 v34, v49, 0xb08e, -v34
	v_fmamk_f16 v94, v49, 0xbbad, v37
	v_fma_f16 v37, v49, 0xbbad, -v37
	v_fmamk_f16 v95, v49, 0x36a6, v70
	v_fma_f16 v70, v49, 0x36a6, -v70
	v_fmamk_f16 v96, v49, 0x3abb, v71
	v_fma_f16 v49, v49, 0x3abb, -v71
	v_fmamk_f16 v71, v50, 0x3beb, v72
	v_fmac_f16_e32 v72, 0xbbeb, v50
	v_fmamk_f16 v97, v50, 0xb482, v73
	v_fmac_f16_e32 v73, 0x3482, v50
	v_fmamk_f16 v98, v50, 0xbb47, v32
	v_fmac_f16_e32 v32, 0x3b47, v50
	v_fmamk_f16 v99, v50, 0x3853, v74
	v_fmac_f16_e32 v74, 0xb853, v50
	v_pk_fma_f16 v100, 0xba0c, v50, v75 op_sel:[0,0,1] op_sel_hi:[0,1,0]
	v_pk_fma_f16 v50, 0xba0c, v50, v75 op_sel:[0,0,1] op_sel_hi:[0,1,0] neg_lo:[0,1,0] neg_hi:[0,1,0]
	;; [unrolled: 18-line block ×3, first 2 shown]
	v_lshrrev_b32_e32 v78, 16, v43
	v_pk_fma_f16 v108, 0xb08e, v43, v79 op_sel_hi:[0,1,1]
	v_pk_fma_f16 v79, 0xb08e, v43, v79 op_sel_hi:[0,1,1] neg_lo:[0,0,1] neg_hi:[0,0,1]
	v_mul_f16_e32 v109, 0xbbad, v43
	v_mul_f16_e32 v110, 0x3abb, v43
	;; [unrolled: 1-line block ×4, first 2 shown]
	v_add_f16_e32 v21, v23, v4
	v_add_f16_sdwa v23, v80, v4 dst_sel:DWORD dst_unused:UNUSED_PAD src0_sel:DWORD src1_sel:WORD_1
	v_add_f16_e32 v45, v45, v4
	v_add_f16_sdwa v55, v55, v4 dst_sel:DWORD dst_unused:UNUSED_PAD src0_sel:DWORD src1_sel:WORD_1
	;; [unrolled: 2-line block ×3, first 2 shown]
	v_add_f16_e32 v56, v56, v4
	v_add_f16_e32 v82, v83, v4
	v_add_f16_sdwa v83, v84, v4 dst_sel:DWORD dst_unused:UNUSED_PAD src0_sel:DWORD src1_sel:WORD_1
	v_add_f16_e32 v58, v58, v4
	v_add_f16_sdwa v59, v59, v4 dst_sel:DWORD dst_unused:UNUSED_PAD src0_sel:DWORD src1_sel:WORD_1
	;; [unrolled: 2-line block ×3, first 2 shown]
	v_pk_add_f16 v60, v60, v4 op_sel:[0,1] op_sel_hi:[1,0]
	v_add_f16_e32 v44, v44, v18
	v_add_f16_sdwa v18, v20, v18 dst_sel:DWORD dst_unused:UNUSED_PAD src0_sel:DWORD src1_sel:WORD_1
	v_add_f16_sdwa v57, v57, v4 dst_sel:DWORD dst_unused:UNUSED_PAD src0_sel:DWORD src1_sel:WORD_1
	v_add_f16_e32 v84, v85, v4
	v_add_f16_sdwa v85, v86, v4 dst_sel:DWORD dst_unused:UNUSED_PAD src0_sel:DWORD src1_sel:WORD_1
	v_pk_add_f16 v4, v22, v4 op_sel:[0,1] op_sel_hi:[1,0]
	v_fmamk_f16 v22, v78, 0xbbad, v41
	v_fma_f16 v41, v78, 0xbbad, -v41
	v_fmamk_f16 v86, v78, 0x3abb, v42
	v_fma_f16 v42, v78, 0x3abb, -v42
	;; [unrolled: 2-line block ×4, first 2 shown]
	v_fmamk_f16 v78, v54, 0x3482, v109
	v_fmac_f16_e32 v109, 0xb482, v54
	v_fmamk_f16 v114, v54, 0xb853, v110
	v_fmac_f16_e32 v110, 0x3853, v54
	;; [unrolled: 2-line block ×4, first 2 shown]
	v_add_f16_e32 v21, v62, v21
	v_add_f16_e32 v23, v64, v23
	;; [unrolled: 1-line block ×12, first 2 shown]
	v_pk_add_f16 v47, v93, v60
	v_add_f16_e32 v44, v44, v19
	v_add_f16_sdwa v18, v18, v19 dst_sel:DWORD dst_unused:UNUSED_PAD src0_sel:DWORD src1_sel:WORD_1
	v_add_f16_e32 v56, v66, v57
	v_add_f16_e32 v57, v88, v82
	;; [unrolled: 1-line block ×4, first 2 shown]
	v_pk_add_f16 v4, v48, v4
	v_add_f16_e32 v19, v69, v21
	v_add_f16_e32 v21, v71, v23
	v_add_f16_e32 v23, v34, v33
	v_add_f16_e32 v33, v72, v45
	v_add_f16_e32 v34, v94, v54
	v_add_f16_e32 v45, v97, v55
	v_add_f16_e32 v37, v37, v53
	v_add_f16_e32 v54, v98, v62
	v_add_f16_e32 v55, v70, v58
	v_add_f16_e32 v32, v32, v59
	v_add_f16_e32 v20, v74, v20
	v_pk_add_f16 v47, v100, v47
	v_add_f16_e32 v44, v44, v16
	v_add_f16_sdwa v16, v18, v16 dst_sel:DWORD dst_unused:UNUSED_PAD src0_sel:DWORD src1_sel:WORD_1
	v_add_f16_e32 v48, v73, v56
	v_add_f16_e32 v53, v95, v57
	;; [unrolled: 1-line block ×4, first 2 shown]
	v_pk_add_f16 v4, v50, v4
	v_add_f16_e32 v46, v49, v46
	v_add_f16_e32 v18, v75, v19
	;; [unrolled: 1-line block ×11, first 2 shown]
	v_pk_add_f16 v39, v107, v47
	v_add_f16_e32 v44, v44, v17
	v_add_f16_sdwa v16, v16, v17 dst_sel:DWORD dst_unused:UNUSED_PAD src0_sel:DWORD src1_sel:WORD_1
	v_add_f16_e32 v34, v104, v45
	v_add_f16_e32 v35, v35, v48
	;; [unrolled: 1-line block ×5, first 2 shown]
	v_pk_add_f16 v4, v52, v4
	v_add_f16_e32 v46, v51, v46
	v_add_f16_e32 v17, v22, v18
	;; [unrolled: 1-line block ×7, first 2 shown]
	v_pk_add_f16 v38, v108, v39
	v_add_f16_e32 v39, v44, v14
	v_add_f16_sdwa v14, v16, v14 dst_sel:DWORD dst_unused:UNUSED_PAD src0_sel:DWORD src1_sel:WORD_1
	v_add_f16_e32 v18, v78, v19
	v_add_f16_e32 v19, v41, v21
	;; [unrolled: 1-line block ×8, first 2 shown]
	v_pk_add_f16 v4, v79, v4
	v_add_f16_e32 v37, v40, v46
	v_add_f16_e32 v20, v43, v20
	v_pack_b32_f16 v29, v29, v30
	v_add_f16_e32 v30, v39, v15
	v_add_f16_sdwa v14, v14, v15 dst_sel:WORD_1 dst_unused:UNUSED_PAD src0_sel:DWORD src1_sel:WORD_1
	v_pack_b32_f16 v16, v22, v23
	v_pack_b32_f16 v17, v17, v18
	;; [unrolled: 1-line block ×4, first 2 shown]
	v_alignbit_b32 v23, v38, v4, 16
	v_alignbit_b32 v4, v4, v38, 16
	v_pack_b32_f16 v15, v37, v20
	v_pack_b32_f16 v19, v19, v21
	;; [unrolled: 1-line block ×3, first 2 shown]
	v_or_b32_sdwa v14, v14, v30 dst_sel:DWORD dst_unused:UNUSED_PAD src0_sel:DWORD src1_sel:WORD_0
	ds_write2_b32 v0, v17, v16 offset0:1 offset1:2
	ds_write2_b32 v0, v22, v18 offset0:3 offset1:4
	;; [unrolled: 1-line block ×5, first 2 shown]
	ds_write_b32 v0, v14
	s_waitcnt lgkmcnt(0)
	s_barrier
	buffer_gl0_inv
	ds_read2_b32 v[16:17], v0 offset1:1
	ds_read2_b32 v[18:19], v0 offset0:2 offset1:3
	ds_read2_b32 v[20:21], v0 offset0:4 offset1:5
	ds_read2_b32 v[14:15], v0 offset0:6 offset1:7
	s_waitcnt lgkmcnt(3)
	v_lshrrev_b32_e32 v4, 16, v16
	v_mul_f16_sdwa v22, v9, v16 dst_sel:DWORD dst_unused:UNUSED_PAD src0_sel:WORD_1 src1_sel:DWORD
	v_lshrrev_b32_e32 v23, 16, v17
	v_mul_f16_e32 v29, v28, v17
	s_waitcnt lgkmcnt(2)
	v_lshrrev_b32_e32 v30, 16, v18
	v_mul_f16_sdwa v31, v11, v18 dst_sel:DWORD dst_unused:UNUSED_PAD src0_sel:WORD_1 src1_sel:DWORD
	v_fma_f16 v22, v9, v4, -v22
	v_mul_f16_sdwa v4, v9, v4 dst_sel:DWORD dst_unused:UNUSED_PAD src0_sel:WORD_1 src1_sel:DWORD
	v_fma_f16 v29, v10, v23, -v29
	v_mul_f16_e32 v32, v28, v23
	v_fma_f16 v31, v11, v30, -v31
	v_cvt_f32_f16_e32 v22, v22
	v_fmac_f16_e32 v4, v9, v16
	v_cvt_f32_f16_e32 v28, v29
	v_fmac_f16_e32 v32, v10, v17
	v_cvt_f32_f16_e32 v29, v31
	v_cvt_f64_f32_e32 v[22:23], v22
	v_mul_f16_sdwa v33, v11, v30 dst_sel:DWORD dst_unused:UNUSED_PAD src0_sel:WORD_1 src1_sel:DWORD
	v_cvt_f64_f32_e32 v[9:10], v28
	v_cvt_f32_f16_e32 v4, v4
	v_cvt_f64_f32_e32 v[28:29], v29
	v_mad_u64_u32 v[16:17], null, s10, v13, 0
	v_fmac_f16_e32 v33, v11, v18
	v_cvt_f32_f16_e32 v11, v32
	v_cvt_f64_f32_e32 v[30:31], v4
	v_cvt_f32_f16_e32 v18, v33
	v_cvt_f64_f32_e32 v[32:33], v11
	v_mov_b32_e32 v4, v17
	v_lshrrev_b32_e32 v11, 16, v19
	v_cvt_f64_f32_e32 v[34:35], v18
	v_mad_u64_u32 v[17:18], null, s11, v13, v[4:5]
	v_mul_f16_e32 v4, v27, v11
	v_mul_f64 v[22:23], v[22:23], s[12:13]
	v_mul_f16_e32 v13, v27, v19
	v_mul_f64 v[9:10], v[9:10], s[12:13]
	s_load_dwordx2 s[10:11], s[4:5], 0x38
	v_mul_f64 v[28:29], v[28:29], s[12:13]
	v_fmac_f16_e32 v4, v12, v19
	v_fma_f16 v13, v12, v11, -v13
	v_lshlrev_b64 v[16:17], 2, v[16:17]
	v_mul_f64 v[30:31], v[30:31], s[12:13]
	v_cvt_f32_f16_e32 v4, v4
	v_cvt_f32_f16_e32 v13, v13
	v_mul_f64 v[18:19], v[32:33], s[12:13]
	v_cvt_f64_f32_e32 v[11:12], v4
	v_mul_f64 v[32:33], v[34:35], s[12:13]
	v_and_or_b32 v4, 0x1ff, v23, v22
	v_lshrrev_b32_e32 v22, 8, v23
	v_and_or_b32 v9, 0x1ff, v10, v9
	v_bfe_u32 v27, v23, 20, 11
	v_and_or_b32 v28, 0x1ff, v29, v28
	v_cmp_ne_u32_e32 vcc_lo, 0, v4
	v_lshrrev_b32_e32 v34, 8, v10
	v_bfe_u32 v35, v10, 20, 11
	v_sub_nc_u32_e32 v40, 0x3f1, v27
	v_and_or_b32 v30, 0x1ff, v31, v30
	v_cndmask_b32_e64 v4, 0, 1, vcc_lo
	v_cmp_ne_u32_e32 vcc_lo, 0, v9
	v_lshrrev_b32_e32 v38, 8, v31
	v_and_or_b32 v18, 0x1ff, v19, v18
	v_bfe_u32 v39, v31, 20, 11
	v_and_or_b32 v4, 0xffe, v22, v4
	v_cndmask_b32_e64 v9, 0, 1, vcc_lo
	v_cmp_ne_u32_e32 vcc_lo, 0, v28
	v_and_or_b32 v32, 0x1ff, v33, v32
	v_add_nc_u32_e32 v27, 0xfffffc10, v27
	v_lshrrev_b32_e32 v41, 8, v19
	v_bfe_u32 v42, v19, 20, 11
	v_cndmask_b32_e64 v28, 0, 1, vcc_lo
	v_cmp_ne_u32_e32 vcc_lo, 0, v30
	v_and_or_b32 v9, 0xffe, v34, v9
	v_sub_nc_u32_e32 v43, 0x3f1, v35
	v_add_nc_u32_e32 v35, 0xfffffc10, v35
	v_bfe_u32 v45, v33, 20, 11
	v_cndmask_b32_e64 v30, 0, 1, vcc_lo
	v_cmp_ne_u32_e32 vcc_lo, 0, v18
	v_sub_nc_u32_e32 v47, 0x3f1, v39
	v_med3_i32 v40, v40, 0, 13
	v_sub_nc_u32_e32 v48, 0x3f1, v42
	v_and_or_b32 v30, 0xffe, v38, v30
	v_cndmask_b32_e64 v18, 0, 1, vcc_lo
	v_cmp_ne_u32_e32 vcc_lo, 0, v32
	v_or_b32_e32 v38, 0x1000, v4
	v_lshrrev_b32_e32 v36, 8, v29
	v_add_nc_u32_e32 v39, 0xfffffc10, v39
	v_and_or_b32 v18, 0xffe, v41, v18
	v_cndmask_b32_e64 v22, 0, 1, vcc_lo
	v_cmp_ne_u32_e32 vcc_lo, 0, v4
	v_lshl_or_b32 v41, v27, 12, v4
	v_med3_i32 v43, v43, 0, 13
	v_sub_nc_u32_e32 v49, 0x3f1, v45
	v_med3_i32 v32, v47, 0, 13
	v_cndmask_b32_e64 v4, 0, 1, vcc_lo
	v_cmp_ne_u32_e32 vcc_lo, 0, v9
	v_med3_i32 v34, v48, 0, 13
	v_or_b32_e32 v47, 0x1000, v9
	v_lshl_or_b32 v48, v35, 12, v9
	v_lshrrev_b32_e32 v50, v40, v38
	v_cndmask_b32_e64 v9, 0, 1, vcc_lo
	v_cmp_ne_u32_e32 vcc_lo, 0, v30
	v_add_nc_u32_e32 v42, 0xfffffc10, v42
	v_and_or_b32 v28, 0xffe, v36, v28
	v_med3_i32 v36, v49, 0, 13
	v_or_b32_e32 v49, 0x1000, v30
	v_lshrrev_b32_e32 v52, v43, v47
	v_lshl_or_b32 v53, v39, 12, v30
	v_cndmask_b32_e64 v30, 0, 1, vcc_lo
	v_cmp_ne_u32_e32 vcc_lo, 0, v18
	v_lshlrev_b32_e32 v40, v40, v50
	v_or_b32_e32 v51, 0x1000, v18
	v_lshl_or_b32 v55, v42, 12, v18
	v_lshrrev_b32_e32 v58, v32, v49
	v_cndmask_b32_e64 v18, 0, 1, vcc_lo
	v_lshlrev_b32_e32 v43, v43, v52
	v_cmp_ne_u32_e32 vcc_lo, v40, v38
	v_lshrrev_b32_e32 v59, v34, v51
	v_lshlrev_b32_e32 v32, v32, v58
	v_lshrrev_b32_e32 v44, 8, v33
	v_lshl_or_b32 v30, v30, 9, 0x7c00
	v_cndmask_b32_e64 v38, 0, 1, vcc_lo
	v_cmp_ne_u32_e32 vcc_lo, v43, v47
	v_lshlrev_b32_e32 v34, v34, v59
	v_and_or_b32 v22, 0xffe, v44, v22
	v_bfe_u32 v37, v29, 20, 11
	v_or_b32_e32 v38, v50, v38
	v_cndmask_b32_e64 v40, 0, 1, vcc_lo
	v_cmp_ne_u32_e32 vcc_lo, v32, v49
	v_or_b32_e32 v54, 0x1000, v22
	v_lshl_or_b32 v4, v4, 9, 0x7c00
	v_sub_nc_u32_e32 v46, 0x3f1, v37
	v_or_b32_e32 v40, v52, v40
	v_cndmask_b32_e64 v32, 0, 1, vcc_lo
	v_cmp_ne_u32_e32 vcc_lo, v34, v51
	v_lshrrev_b32_e32 v60, v36, v54
	v_lshl_or_b32 v18, v18, 9, 0x7c00
	v_lshrrev_b32_e32 v31, 16, v31
	v_or_b32_e32 v32, v58, v32
	v_cndmask_b32_e64 v34, 0, 1, vcc_lo
	v_cmp_gt_i32_e32 vcc_lo, 1, v27
	v_lshlrev_b32_e32 v36, v36, v60
	v_add_nc_u32_e32 v45, 0xfffffc10, v45
	v_med3_i32 v46, v46, 0, 13
	v_or_b32_e32 v34, v59, v34
	v_cndmask_b32_e32 v38, v41, v38, vcc_lo
	v_cmp_gt_i32_e32 vcc_lo, 1, v35
	v_or_b32_e32 v44, 0x1000, v28
	v_lshl_or_b32 v9, v9, 9, 0x7c00
	v_lshrrev_b32_e32 v23, 16, v23
	v_and_b32_e32 v41, 7, v38
	v_cndmask_b32_e32 v40, v48, v40, vcc_lo
	v_cmp_gt_i32_e32 vcc_lo, 1, v39
	v_lshrrev_b32_e32 v38, 2, v38
	v_lshrrev_b32_e32 v19, 16, v19
	v_cmp_eq_u32_e64 s0, 3, v41
	v_and_b32_e32 v43, 7, v40
	v_cndmask_b32_e32 v32, v53, v32, vcc_lo
	v_cmp_gt_i32_e32 vcc_lo, 1, v42
	v_lshrrev_b32_e32 v40, 2, v40
	v_lshl_or_b32 v56, v45, 12, v22
	v_cmp_lt_i32_e64 s3, 5, v43
	v_and_b32_e32 v47, 7, v32
	v_cndmask_b32_e32 v34, v55, v34, vcc_lo
	v_cmp_lt_i32_e32 vcc_lo, 5, v41
	v_lshrrev_b32_e32 v32, 2, v32
	v_cmp_eq_u32_e64 s4, 3, v43
	v_cmp_lt_i32_e64 s1, 5, v47
	v_and_b32_e32 v41, 7, v34
	v_cmp_eq_u32_e64 s2, 3, v47
	v_lshrrev_b32_e32 v34, 2, v34
	s_or_b32 vcc_lo, s0, vcc_lo
	v_lshrrev_b32_e32 v57, v46, v44
	v_cmp_lt_i32_e64 s5, 5, v41
	v_cmp_eq_u32_e64 s6, 3, v41
	v_add_co_ci_u32_e32 v38, vcc_lo, 0, v38, vcc_lo
	s_or_b32 s1, s2, s1
	v_lshrrev_b32_e32 v10, 16, v10
	s_or_b32 vcc_lo, s6, s5
	v_add_co_ci_u32_e64 v32, s1, 0, v32, s1
	v_add_co_ci_u32_e32 v34, vcc_lo, 0, v34, vcc_lo
	v_cmp_gt_i32_e32 vcc_lo, 31, v39
	v_mul_f64 v[11:12], v[11:12], s[12:13]
	v_lshrrev_b32_e32 v29, 16, v29
	v_cndmask_b32_e32 v32, 0x7c00, v32, vcc_lo
	s_or_b32 vcc_lo, s4, s3
	s_lshl_b64 s[2:3], s[8:9], 2
	v_add_co_ci_u32_e32 v40, vcc_lo, 0, v40, vcc_lo
	v_cmp_gt_i32_e32 vcc_lo, 31, v27
	s_lshl_b64 s[4:5], s[8:9], 5
	v_cndmask_b32_e32 v38, 0x7c00, v38, vcc_lo
	v_cmp_gt_i32_e32 vcc_lo, 31, v42
	v_cndmask_b32_e32 v34, 0x7c00, v34, vcc_lo
	v_cmp_eq_u32_e32 vcc_lo, 0x40f, v39
	v_and_or_b32 v11, 0x1ff, v12, v11
	v_cndmask_b32_e32 v30, v32, v30, vcc_lo
	v_cmp_ne_u32_e32 vcc_lo, v36, v54
	v_cndmask_b32_e64 v32, 0, 1, vcc_lo
	v_cmp_gt_i32_e32 vcc_lo, 31, v35
	v_cndmask_b32_e32 v36, 0x7c00, v40, vcc_lo
	v_cmp_eq_u32_e32 vcc_lo, 0x40f, v27
	v_and_or_b32 v27, 0x8000, v31, v30
	v_or_b32_e32 v30, v60, v32
	v_lshrrev_b32_e32 v32, 16, v33
	s_waitcnt lgkmcnt(0)
	v_lshrrev_b32_e32 v33, 16, v20
	v_cndmask_b32_e32 v4, v38, v4, vcc_lo
	v_cmp_eq_u32_e32 vcc_lo, 0x40f, v42
	v_and_or_b32 v4, 0x8000, v23, v4
	v_cndmask_b32_e32 v18, v34, v18, vcc_lo
	v_cmp_eq_u32_e32 vcc_lo, 0x40f, v35
	v_lshlrev_b32_e32 v23, v46, v57
	v_mul_f16_sdwa v34, v5, v33 dst_sel:DWORD dst_unused:UNUSED_PAD src0_sel:WORD_1 src1_sel:DWORD
	v_and_or_b32 v18, 0x8000, v19, v18
	v_cndmask_b32_e32 v9, v36, v9, vcc_lo
	v_cmp_gt_i32_e32 vcc_lo, 1, v45
	v_and_b32_e32 v19, 0xffff, v27
	v_cmp_ne_u32_e64 s0, v23, v44
	v_and_b32_e32 v18, 0xffff, v18
	v_add_nc_u32_e32 v23, 0xfffffc10, v37
	v_cndmask_b32_e32 v27, v56, v30, vcc_lo
	v_and_or_b32 v30, 0x8000, v10, v9
	v_lshl_or_b32 v31, v4, 16, v19
	v_add_co_u32 v9, vcc_lo, s10, v16
	v_and_b32_e32 v4, 7, v27
	v_add_co_ci_u32_e32 v10, vcc_lo, s11, v17, vcc_lo
	v_cvt_f64_f32_e32 v[16:17], v13
	v_cndmask_b32_e64 v13, 0, 1, s0
	v_cmp_lt_i32_e32 vcc_lo, 5, v4
	v_cmp_eq_u32_e64 s0, 3, v4
	v_lshrrev_b32_e32 v4, 2, v27
	v_lshl_or_b32 v30, v30, 16, v18
	v_or_b32_e32 v13, v57, v13
	v_lshl_or_b32 v18, v23, 12, v28
	s_or_b32 vcc_lo, s0, vcc_lo
	v_bfe_u32 v27, v12, 20, 11
	v_add_co_ci_u32_e32 v4, vcc_lo, 0, v4, vcc_lo
	v_cmp_ne_u32_e32 vcc_lo, 0, v22
	v_lshrrev_b32_e32 v22, 8, v12
	v_fmac_f16_e32 v34, v5, v20
	v_mul_f16_sdwa v20, v5, v20 dst_sel:DWORD dst_unused:UNUSED_PAD src0_sel:WORD_1 src1_sel:DWORD
	global_store_dword v[9:10], v31, off
	v_cndmask_b32_e64 v19, 0, 1, vcc_lo
	v_cmp_gt_i32_e32 vcc_lo, 1, v23
	v_cvt_f32_f16_e32 v34, v34
	v_fma_f16 v20, v5, v33, -v20
	v_mul_f64 v[16:17], v[16:17], s[12:13]
	v_cndmask_b32_e32 v13, v18, v13, vcc_lo
	v_cmp_gt_i32_e32 vcc_lo, 31, v45
	v_lshl_or_b32 v18, v19, 9, 0x7c00
	v_and_b32_e32 v19, 7, v13
	v_cndmask_b32_e32 v4, 0x7c00, v4, vcc_lo
	v_cmp_ne_u32_e32 vcc_lo, 0, v11
	v_lshrrev_b32_e32 v13, 2, v13
	v_cmp_eq_u32_e64 s0, 3, v19
	v_cndmask_b32_e64 v11, 0, 1, vcc_lo
	v_cmp_eq_u32_e32 vcc_lo, 0x40f, v45
	v_and_or_b32 v11, 0xffe, v22, v11
	v_cndmask_b32_e32 v4, v4, v18, vcc_lo
	v_cmp_lt_i32_e32 vcc_lo, 5, v19
	v_sub_nc_u32_e32 v18, 0x3f1, v27
	v_and_or_b32 v16, 0x1ff, v17, v16
	v_or_b32_e32 v19, 0x1000, v11
	v_lshrrev_b32_e32 v35, 8, v17
	s_or_b32 vcc_lo, s0, vcc_lo
	v_med3_i32 v18, v18, 0, 13
	v_add_co_ci_u32_e32 v13, vcc_lo, 0, v13, vcc_lo
	v_cmp_ne_u32_e32 vcc_lo, 0, v28
	v_bfe_u32 v36, v17, 20, 11
	v_lshrrev_b32_e32 v22, v18, v19
	v_and_or_b32 v4, 0x8000, v32, v4
	v_cndmask_b32_e64 v28, 0, 1, vcc_lo
	v_cmp_ne_u32_e32 vcc_lo, 0, v16
	v_lshlrev_b32_e32 v18, v18, v22
	v_and_b32_e32 v32, 0xffff, v4
	v_lshl_or_b32 v28, v28, 9, 0x7c00
	v_cndmask_b32_e64 v16, 0, 1, vcc_lo
	v_cmp_gt_i32_e32 vcc_lo, 31, v23
	v_and_or_b32 v16, 0xffe, v35, v16
	v_cndmask_b32_e32 v13, 0x7c00, v13, vcc_lo
	v_cmp_ne_u32_e32 vcc_lo, v18, v19
	v_cvt_f64_f32_e32 v[18:19], v34
	v_sub_nc_u32_e32 v35, 0x3f1, v36
	v_add_nc_u32_e32 v34, 0xfffffc10, v27
	v_or_b32_e32 v27, 0x1000, v16
	v_cndmask_b32_e64 v37, 0, 1, vcc_lo
	v_cmp_eq_u32_e32 vcc_lo, 0x40f, v23
	v_med3_i32 v35, v35, 0, 13
	v_cndmask_b32_e32 v13, v13, v28, vcc_lo
	v_or_b32_e32 v28, v22, v37
	v_add_co_u32 v22, vcc_lo, v9, s2
	v_add_co_ci_u32_e32 v23, vcc_lo, s3, v10, vcc_lo
	v_lshl_or_b32 v37, v34, 12, v11
	v_lshrrev_b32_e32 v38, v35, v27
	v_cmp_gt_i32_e32 vcc_lo, 1, v34
	v_and_or_b32 v13, 0x8000, v29, v13
	s_lshl_b64 s[2:3], s[8:9], 3
	v_lshlrev_b32_e32 v29, v35, v38
	v_cndmask_b32_e32 v28, v37, v28, vcc_lo
	v_mul_f64 v[4:5], v[18:19], s[12:13]
	v_cvt_f32_f16_e32 v18, v20
	v_lshl_or_b32 v13, v13, 16, v32
	v_cmp_ne_u32_e32 vcc_lo, v29, v27
	v_and_b32_e32 v31, 7, v28
	v_lshrrev_b32_e32 v28, 2, v28
	v_add_nc_u32_e32 v29, 0xfffffc10, v36
	v_cvt_f64_f32_e32 v[18:19], v18
	v_cndmask_b32_e64 v20, 0, 1, vcc_lo
	v_cmp_lt_i32_e32 vcc_lo, 5, v31
	v_cmp_eq_u32_e64 s0, 3, v31
	v_lshl_or_b32 v27, v29, 12, v16
	v_cmp_gt_i32_e64 s1, 1, v29
	v_or_b32_e32 v20, v38, v20
	s_or_b32 vcc_lo, s0, vcc_lo
	v_add_co_ci_u32_e32 v31, vcc_lo, 0, v28, vcc_lo
	v_cmp_ne_u32_e32 vcc_lo, 0, v11
	v_cndmask_b32_e64 v20, v27, v20, s1
	v_and_or_b32 v4, 0x1ff, v5, v4
	v_lshrrev_b32_e32 v33, 8, v5
	v_cndmask_b32_e64 v11, 0, 1, vcc_lo
	v_add_co_u32 v27, vcc_lo, v9, s2
	v_add_co_ci_u32_e32 v28, vcc_lo, s3, v10, vcc_lo
	v_cmp_gt_i32_e32 vcc_lo, 31, v34
	v_and_b32_e32 v32, 7, v20
	v_mul_f64 v[18:19], v[18:19], s[12:13]
	v_lshrrev_b32_e32 v20, 2, v20
	v_lshl_or_b32 v11, v11, 9, 0x7c00
	v_cndmask_b32_e32 v31, 0x7c00, v31, vcc_lo
	v_cmp_ne_u32_e32 vcc_lo, 0, v4
	v_cmp_eq_u32_e64 s0, 3, v32
	v_bfe_u32 v35, v5, 20, 11
	global_store_dword v[22:23], v30, off
	global_store_dword v[27:28], v13, off
	v_lshrrev_b32_e32 v30, 16, v14
	v_cndmask_b32_e64 v4, 0, 1, vcc_lo
	v_cmp_lt_i32_e32 vcc_lo, 5, v32
	s_lshl_b64 s[2:3], s[8:9], 4
	v_and_or_b32 v32, 0xffe, v33, v4
	s_or_b32 vcc_lo, s0, vcc_lo
	v_lshrrev_b32_e32 v33, 16, v21
	v_add_co_ci_u32_e32 v20, vcc_lo, 0, v20, vcc_lo
	v_cmp_eq_u32_e32 vcc_lo, 0x40f, v34
	v_sub_nc_u32_e32 v4, 0x3f1, v35
	v_mul_f16_e32 v37, v26, v33
	v_or_b32_e32 v36, 0x1000, v32
	v_and_or_b32 v18, 0x1ff, v19, v18
	v_cndmask_b32_e32 v31, v31, v11, vcc_lo
	v_cmp_ne_u32_e32 vcc_lo, 0, v16
	v_fmac_f16_e32 v37, v6, v21
	v_med3_i32 v4, v4, 0, 13
	v_bfe_u32 v38, v19, 20, 11
	v_add_nc_u32_e32 v35, 0xfffffc10, v35
	v_cndmask_b32_e64 v11, 0, 1, vcc_lo
	v_cmp_gt_i32_e32 vcc_lo, 31, v29
	v_cvt_f32_f16_e32 v34, v37
	v_lshrrev_b32_e32 v37, 16, v12
	v_lshrrev_b32_e32 v16, v4, v36
	v_lshl_or_b32 v11, v11, 9, 0x7c00
	v_cndmask_b32_e32 v20, 0x7c00, v20, vcc_lo
	v_cmp_eq_u32_e32 vcc_lo, 0x40f, v29
	v_lshrrev_b32_e32 v29, 8, v19
	v_lshlrev_b32_e32 v4, v4, v16
	v_add_nc_u32_e32 v13, 0xfffffc10, v38
	v_lshrrev_b32_e32 v19, 16, v19
	v_cndmask_b32_e32 v20, v20, v11, vcc_lo
	v_cvt_f64_f32_e32 v[11:12], v34
	v_cmp_ne_u32_e32 vcc_lo, 0, v18
	v_lshrrev_b32_e32 v34, 16, v17
	v_sub_nc_u32_e32 v17, 0x3f1, v38
	v_cndmask_b32_e64 v18, 0, 1, vcc_lo
	v_cmp_ne_u32_e32 vcc_lo, v4, v36
	v_med3_i32 v36, v17, 0, 13
	v_and_or_b32 v29, 0xffe, v29, v18
	v_mul_f16_e32 v18, v26, v21
	v_cndmask_b32_e64 v4, 0, 1, vcc_lo
	v_and_or_b32 v26, 0x8000, v37, v31
	v_cmp_gt_i32_e32 vcc_lo, 1, v35
	v_or_b32_e32 v31, 0x1000, v29
	v_fma_f16 v6, v6, v33, -v18
	v_or_b32_e32 v4, v16, v4
	v_lshl_or_b32 v18, v35, 12, v32
	v_and_or_b32 v33, 0x8000, v34, v20
	v_lshrrev_b32_e32 v34, v36, v31
	v_cvt_f32_f16_e32 v6, v6
	v_mul_f64 v[11:12], v[11:12], s[12:13]
	v_mad_u64_u32 v[16:17], null, s8, 12, v[9:10]
	v_cndmask_b32_e32 v37, v18, v4, vcc_lo
	v_cvt_f64_f32_e32 v[20:21], v6
	v_and_b32_e32 v6, 0xffff, v26
	v_lshlrev_b32_e32 v26, v36, v34
	v_lshl_or_b32 v22, v13, 12, v29
	v_and_b32_e32 v36, 7, v37
	v_mov_b32_e32 v4, v17
	v_cmp_ne_u32_e64 s0, v26, v31
	v_cmp_lt_i32_e32 vcc_lo, 5, v36
	v_mad_u64_u32 v[17:18], null, s9, 12, v[4:5]
	v_lshl_or_b32 v4, v33, 16, v6
	v_cndmask_b32_e64 v6, 0, 1, s0
	v_cmp_eq_u32_e64 s0, 3, v36
	v_lshrrev_b32_e32 v18, 2, v37
	v_lshrrev_b32_e32 v5, 16, v5
	v_or_b32_e32 v6, v34, v6
	s_or_b32 vcc_lo, s0, vcc_lo
	v_and_or_b32 v11, 0x1ff, v12, v11
	v_add_co_ci_u32_e32 v18, vcc_lo, 0, v18, vcc_lo
	v_cmp_gt_i32_e32 vcc_lo, 1, v13
	v_mul_f64 v[20:21], v[20:21], s[12:13]
	v_bfe_u32 v26, v12, 20, 11
	global_store_dword v[16:17], v4, off
	v_cndmask_b32_e32 v6, v22, v6, vcc_lo
	v_cmp_ne_u32_e32 vcc_lo, 0, v11
	v_lshrrev_b32_e32 v22, 8, v12
	v_lshrrev_b32_e32 v12, 16, v12
	v_and_b32_e32 v27, 7, v6
	v_cndmask_b32_e64 v11, 0, 1, vcc_lo
	v_cmp_ne_u32_e32 vcc_lo, 0, v32
	v_lshrrev_b32_e32 v6, 2, v6
	v_cmp_eq_u32_e64 s0, 3, v27
	v_and_or_b32 v11, 0xffe, v22, v11
	v_cndmask_b32_e64 v23, 0, 1, vcc_lo
	v_cmp_gt_i32_e32 vcc_lo, 31, v35
	v_sub_nc_u32_e32 v22, 0x3f1, v26
	v_add_nc_u32_e32 v26, 0xfffffc10, v26
	v_or_b32_e32 v28, 0x1000, v11
	v_cndmask_b32_e32 v18, 0x7c00, v18, vcc_lo
	v_cmp_lt_i32_e32 vcc_lo, 5, v27
	v_med3_i32 v22, v22, 0, 13
	v_lshl_or_b32 v27, v23, 9, 0x7c00
	v_mul_f16_sdwa v23, v7, v30 dst_sel:DWORD dst_unused:UNUSED_PAD src0_sel:WORD_1 src1_sel:DWORD
	v_and_or_b32 v20, 0x1ff, v21, v20
	s_or_b32 vcc_lo, s0, vcc_lo
	v_lshrrev_b32_e32 v31, v22, v28
	v_add_co_ci_u32_e32 v6, vcc_lo, 0, v6, vcc_lo
	v_cmp_gt_i32_e32 vcc_lo, 31, v13
	v_fmac_f16_e32 v23, v7, v14
	v_lshlrev_b32_e32 v32, v22, v31
	v_lshrrev_b32_e32 v33, 8, v21
	v_bfe_u32 v34, v21, 20, 11
	v_cndmask_b32_e32 v6, 0x7c00, v6, vcc_lo
	v_cmp_ne_u32_e32 vcc_lo, 0, v20
	v_cvt_f32_f16_e32 v22, v23
	v_lshrrev_b32_e32 v21, 16, v21
	v_add_nc_u32_e32 v16, 0xfffffc10, v34
	v_cndmask_b32_e64 v20, 0, 1, vcc_lo
	v_cmp_ne_u32_e32 vcc_lo, v32, v28
	v_cvt_f64_f32_e32 v[22:23], v22
	v_sub_nc_u32_e32 v32, 0x3f1, v34
	v_cmp_gt_i32_e64 s1, 1, v16
	v_and_or_b32 v20, 0xffe, v33, v20
	v_cndmask_b32_e64 v28, 0, 1, vcc_lo
	v_cmp_ne_u32_e32 vcc_lo, 0, v29
	v_lshl_or_b32 v33, v26, 12, v11
	v_med3_i32 v32, v32, 0, 13
	v_or_b32_e32 v28, v31, v28
	v_cndmask_b32_e64 v29, 0, 1, vcc_lo
	v_cmp_eq_u32_e32 vcc_lo, 0x40f, v35
	v_or_b32_e32 v31, 0x1000, v20
	v_lshl_or_b32 v29, v29, 9, 0x7c00
	v_cndmask_b32_e32 v18, v18, v27, vcc_lo
	v_cmp_gt_i32_e32 vcc_lo, 1, v26
	v_lshrrev_b32_e32 v27, v32, v31
	v_and_or_b32 v18, 0x8000, v5, v18
	v_cndmask_b32_e32 v28, v33, v28, vcc_lo
	v_cmp_eq_u32_e32 vcc_lo, 0x40f, v13
	v_and_b32_e32 v18, 0xffff, v18
	v_and_b32_e32 v5, 7, v28
	v_cndmask_b32_e32 v6, v6, v29, vcc_lo
	v_mul_f16_sdwa v29, v7, v14 dst_sel:DWORD dst_unused:UNUSED_PAD src0_sel:WORD_1 src1_sel:DWORD
	v_mul_f64 v[13:14], v[22:23], s[12:13]
	v_lshlrev_b32_e32 v22, v32, v27
	v_cmp_eq_u32_e64 s0, 3, v5
	v_and_or_b32 v6, 0x8000, v19, v6
	v_fma_f16 v7, v7, v30, -v29
	v_cmp_ne_u32_e32 vcc_lo, v22, v31
	v_lshl_or_b32 v22, v16, 12, v20
	v_cvt_f32_f16_e32 v7, v7
	v_cndmask_b32_e64 v4, 0, 1, vcc_lo
	v_cmp_lt_i32_e32 vcc_lo, 5, v5
	v_or_b32_e32 v17, v27, v4
	v_cvt_f64_f32_e32 v[4:5], v7
	v_lshrrev_b32_e32 v7, 2, v28
	s_or_b32 vcc_lo, s0, vcc_lo
	v_cndmask_b32_e64 v17, v22, v17, s1
	v_and_or_b32 v13, 0x1ff, v14, v13
	v_add_co_ci_u32_e32 v7, vcc_lo, 0, v7, vcc_lo
	v_cmp_ne_u32_e32 vcc_lo, 0, v11
	v_and_b32_e32 v19, 7, v17
	v_cmp_ne_u32_e64 s0, 0, v13
	v_lshrrev_b32_e32 v13, 8, v14
	v_lshrrev_b32_e32 v17, 2, v17
	v_cndmask_b32_e64 v11, 0, 1, vcc_lo
	v_cmp_gt_i32_e32 vcc_lo, 31, v26
	v_bfe_u32 v23, v14, 20, 11
	v_lshrrev_b32_e32 v14, 16, v14
	v_lshl_or_b32 v22, v11, 9, 0x7c00
	v_cndmask_b32_e32 v7, 0x7c00, v7, vcc_lo
	v_cmp_lt_i32_e32 vcc_lo, 5, v19
	v_cndmask_b32_e64 v11, 0, 1, s0
	v_cmp_eq_u32_e64 s0, 3, v19
	v_mul_f64 v[4:5], v[4:5], s[12:13]
	v_and_or_b32 v19, 0xffe, v13, v11
	s_or_b32 vcc_lo, s0, vcc_lo
	v_sub_nc_u32_e32 v11, 0x3f1, v23
	v_add_co_ci_u32_e32 v13, vcc_lo, 0, v17, vcc_lo
	v_cmp_ne_u32_e32 vcc_lo, 0, v20
	v_or_b32_e32 v17, 0x1000, v19
	v_med3_i32 v27, v11, 0, 13
	v_lshl_or_b32 v11, v6, 16, v18
	v_lshrrev_b32_e32 v18, 16, v15
	v_cndmask_b32_e64 v6, 0, 1, vcc_lo
	v_cmp_eq_u32_e32 vcc_lo, 0x40f, v26
	v_add_nc_u32_e32 v23, 0xfffffc10, v23
	v_lshl_or_b32 v6, v6, 9, 0x7c00
	v_cndmask_b32_e32 v20, v7, v22, vcc_lo
	v_cmp_gt_i32_e32 vcc_lo, 31, v16
	v_lshrrev_b32_e32 v22, v27, v17
	v_and_or_b32 v4, 0x1ff, v5, v4
	v_lshrrev_b32_e32 v31, 16, v5
	v_and_or_b32 v12, 0x8000, v12, v20
	v_cndmask_b32_e32 v7, 0x7c00, v13, vcc_lo
	v_mul_f16_e32 v13, v25, v18
	v_lshlrev_b32_e32 v26, v27, v22
	v_cmp_eq_u32_e32 vcc_lo, 0x40f, v16
	v_fmac_f16_e32 v13, v8, v15
	v_mul_f16_e32 v15, v25, v15
	v_cndmask_b32_e32 v16, v7, v6, vcc_lo
	v_cmp_ne_u32_e32 vcc_lo, v26, v17
	v_bfe_u32 v26, v5, 20, 11
	v_cvt_f32_f16_e32 v6, v13
	v_lshrrev_b32_e32 v13, 8, v5
	v_and_or_b32 v21, 0x8000, v21, v16
	v_cndmask_b32_e64 v17, 0, 1, vcc_lo
	v_cmp_ne_u32_e32 vcc_lo, 0, v4
	v_cvt_f64_f32_e32 v[6:7], v6
	v_fma_f16 v8, v8, v18, -v15
	v_add_co_u32 v15, s1, v9, s2
	v_cndmask_b32_e64 v4, 0, 1, vcc_lo
	v_cmp_gt_i32_e32 vcc_lo, 1, v23
	v_cvt_f32_f16_e32 v8, v8
	v_and_or_b32 v27, 0xffe, v13, v4
	v_or_b32_e32 v13, v22, v17
	v_lshl_or_b32 v17, v23, 12, v19
	v_sub_nc_u32_e32 v4, 0x3f1, v26
	v_and_b32_e32 v22, 0xffff, v12
	v_or_b32_e32 v20, 0x1000, v27
	v_cndmask_b32_e32 v17, v17, v13, vcc_lo
	v_med3_i32 v4, v4, 0, 13
	v_mad_u64_u32 v[12:13], null, s8, 20, v[9:10]
	v_and_b32_e32 v16, 7, v17
	v_lshrrev_b32_e32 v25, v4, v20
	v_mul_f64 v[6:7], v[6:7], s[12:13]
	v_lshrrev_b32_e32 v28, 2, v17
	v_cvt_f64_f32_e32 v[17:18], v8
	v_cmp_lt_i32_e32 vcc_lo, 5, v16
	v_cmp_eq_u32_e64 s0, 3, v16
	v_lshlrev_b32_e32 v4, v4, v25
	v_add_co_ci_u32_e64 v16, s1, s3, v10, s1
	v_add_nc_u32_e32 v8, 0xfffffc10, v26
	s_or_b32 vcc_lo, s0, vcc_lo
	v_cmp_ne_u32_e64 s1, v4, v20
	v_add_co_ci_u32_e32 v20, vcc_lo, 0, v28, vcc_lo
	v_cmp_ne_u32_e32 vcc_lo, 0, v19
	v_lshl_or_b32 v26, v8, 12, v27
	v_cndmask_b32_e64 v4, 0, 1, s1
	v_lshl_or_b32 v28, v21, 16, v22
	global_store_dword v[15:16], v11, off
	v_cndmask_b32_e64 v19, 0, 1, vcc_lo
	v_cmp_gt_i32_e32 vcc_lo, 31, v23
	v_or_b32_e32 v25, v25, v4
	v_mov_b32_e32 v4, v13
	v_and_or_b32 v6, 0x1ff, v7, v6
	v_lshl_or_b32 v29, v19, 9, 0x7c00
	v_cndmask_b32_e32 v13, 0x7c00, v20, vcc_lo
	v_cmp_gt_i32_e32 vcc_lo, 1, v8
	ds_read2_b32 v[19:20], v0 offset0:8 offset1:9
	v_mad_u64_u32 v[21:22], null, s9, 20, v[4:5]
	v_mul_f64 v[17:18], v[17:18], s[12:13]
	v_cndmask_b32_e32 v25, v26, v25, vcc_lo
	ds_read_b32 v26, v0 offset:40
	v_cmp_eq_u32_e32 vcc_lo, 0x40f, v23
	v_bfe_u32 v23, v7, 20, 11
	v_and_b32_e32 v4, 7, v25
	v_cndmask_b32_e32 v22, v13, v29, vcc_lo
	v_cmp_ne_u32_e32 vcc_lo, 0, v6
	v_lshrrev_b32_e32 v13, 8, v7
	v_cmp_eq_u32_e64 s0, 3, v4
	v_and_or_b32 v14, 0x8000, v14, v22
	v_cndmask_b32_e64 v6, 0, 1, vcc_lo
	v_cmp_lt_i32_e32 vcc_lo, 5, v4
	v_lshrrev_b32_e32 v4, 2, v25
	s_waitcnt lgkmcnt(1)
	v_lshrrev_b32_e32 v0, 16, v19
	v_and_b32_e32 v14, 0xffff, v14
	v_and_or_b32 v25, 0xffe, v13, v6
	s_or_b32 vcc_lo, s0, vcc_lo
	v_sub_nc_u32_e32 v6, 0x3f1, v23
	v_add_co_ci_u32_e32 v4, vcc_lo, 0, v4, vcc_lo
	v_cmp_ne_u32_e32 vcc_lo, 0, v27
	v_or_b32_e32 v27, 0x1000, v25
	v_med3_i32 v6, v6, 0, 13
	v_mul_f16_sdwa v29, v1, v0 dst_sel:DWORD dst_unused:UNUSED_PAD src0_sel:WORD_1 src1_sel:DWORD
	v_and_or_b32 v17, 0x1ff, v18, v17
	v_cndmask_b32_e64 v13, 0, 1, vcc_lo
	v_cmp_gt_i32_e32 vcc_lo, 31, v8
	v_lshrrev_b32_e32 v30, v6, v27
	v_fmac_f16_e32 v29, v1, v19
	v_add_nc_u32_e32 v23, 0xfffffc10, v23
	v_lshl_or_b32 v13, v13, 9, 0x7c00
	v_cndmask_b32_e32 v4, 0x7c00, v4, vcc_lo
	v_cmp_eq_u32_e32 vcc_lo, 0x40f, v8
	v_lshlrev_b32_e32 v6, v6, v30
	v_bfe_u32 v32, v18, 20, 11
	v_mul_f16_sdwa v19, v1, v19 dst_sel:DWORD dst_unused:UNUSED_PAD src0_sel:WORD_1 src1_sel:DWORD
	v_cndmask_b32_e32 v8, v4, v13, vcc_lo
	v_cmp_ne_u32_e32 vcc_lo, 0, v17
	v_cvt_f32_f16_e32 v4, v29
	v_lshrrev_b32_e32 v29, 8, v18
	v_mov_b32_e32 v13, v21
	v_sub_nc_u32_e32 v21, 0x3f1, v32
	v_cndmask_b32_e64 v17, 0, 1, vcc_lo
	v_cmp_ne_u32_e32 vcc_lo, v6, v27
	v_cvt_f64_f32_e32 v[4:5], v4
	v_lshl_or_b32 v27, v23, 12, v25
	v_fma_f16 v0, v1, v0, -v19
	v_and_or_b32 v17, 0xffe, v29, v17
	v_cndmask_b32_e64 v6, 0, 1, vcc_lo
	v_cmp_gt_i32_e32 vcc_lo, 1, v23
	v_med3_i32 v21, v21, 0, 13
	v_cvt_f32_f16_e32 v0, v0
	v_or_b32_e32 v22, 0x1000, v17
	v_or_b32_e32 v6, v30, v6
	global_store_dword v[12:13], v28, off
	v_and_or_b32 v8, 0x8000, v31, v8
	v_add_nc_u32_e32 v16, 0xfffffc10, v32
	v_lshrrev_b32_e32 v29, v21, v22
	v_cndmask_b32_e32 v27, v27, v6, vcc_lo
	v_lshlrev_b32_e32 v1, v21, v29
	v_and_b32_e32 v11, 7, v27
	v_lshrrev_b32_e32 v13, 2, v27
	v_mul_f64 v[5:6], v[4:5], s[12:13]
	v_cmp_ne_u32_e64 s1, v1, v22
	v_cmp_lt_i32_e32 vcc_lo, 5, v11
	v_cmp_eq_u32_e64 s0, 3, v11
	v_cvt_f64_f32_e32 v[11:12], v0
	v_lshl_or_b32 v4, v8, 16, v14
	v_cndmask_b32_e64 v8, 0, 1, s1
	v_lshl_or_b32 v14, v16, 12, v17
	s_or_b32 vcc_lo, s0, vcc_lo
	v_mad_u64_u32 v[0:1], null, s8, 24, v[9:10]
	v_add_co_ci_u32_e32 v13, vcc_lo, 0, v13, vcc_lo
	v_cmp_ne_u32_e32 vcc_lo, 0, v25
	v_or_b32_e32 v8, v29, v8
	v_lshrrev_b32_e32 v29, 16, v7
	v_cndmask_b32_e64 v15, 0, 1, vcc_lo
	v_cmp_gt_i32_e32 vcc_lo, 1, v16
	v_and_or_b32 v5, 0x1ff, v6, v5
	v_lshl_or_b32 v15, v15, 9, 0x7c00
	v_cndmask_b32_e32 v8, v14, v8, vcc_lo
	v_cmp_gt_i32_e32 vcc_lo, 31, v23
	v_mul_f64 v[11:12], v[11:12], s[12:13]
	v_cmp_ne_u32_e64 s0, 0, v5
	v_bfe_u32 v22, v6, 20, 11
	v_and_b32_e32 v21, 7, v8
	v_cndmask_b32_e32 v19, 0x7c00, v13, vcc_lo
	v_cmp_eq_u32_e32 vcc_lo, 0x40f, v23
	v_mad_u64_u32 v[13:14], null, s9, 24, v[1:2]
	v_cndmask_b32_e64 v5, 0, 1, s0
	v_cmp_eq_u32_e64 s0, 3, v21
	v_cndmask_b32_e32 v1, v19, v15, vcc_lo
	v_cmp_lt_i32_e32 vcc_lo, 5, v21
	v_lshrrev_b32_e32 v8, 2, v8
	v_lshrrev_b32_e32 v14, 8, v6
	;; [unrolled: 1-line block ×3, first 2 shown]
	v_and_or_b32 v1, 0x8000, v29, v1
	s_or_b32 vcc_lo, s0, vcc_lo
	v_add_co_ci_u32_e32 v8, vcc_lo, 0, v8, vcc_lo
	v_and_or_b32 v5, 0xffe, v14, v5
	v_sub_nc_u32_e32 v14, 0x3f1, v22
	v_cmp_ne_u32_e32 vcc_lo, 0, v17
	v_mul_f16_e32 v15, v24, v19
	v_and_or_b32 v11, 0x1ff, v12, v11
	v_or_b32_e32 v21, 0x1000, v5
	v_med3_i32 v23, v14, 0, 13
	v_cndmask_b32_e64 v17, 0, 1, vcc_lo
	v_cmp_gt_i32_e32 vcc_lo, 31, v16
	v_fmac_f16_e32 v15, v2, v20
	v_lshrrev_b32_e32 v27, 8, v12
	v_lshrrev_b32_e32 v25, v23, v21
	v_bfe_u32 v28, v12, 20, 11
	v_cndmask_b32_e32 v8, 0x7c00, v8, vcc_lo
	v_cmp_ne_u32_e32 vcc_lo, 0, v11
	v_cvt_f32_f16_e32 v14, v15
	v_lshlrev_b32_e32 v23, v23, v25
	v_sub_nc_u32_e32 v7, 0x3f1, v28
	v_lshl_or_b32 v17, v17, 9, 0x7c00
	v_cndmask_b32_e64 v11, 0, 1, vcc_lo
	v_cvt_f64_f32_e32 v[14:15], v14
	v_cmp_ne_u32_e32 vcc_lo, v23, v21
	v_add_nc_u32_e32 v22, 0xfffffc10, v22
	v_mul_f16_e32 v20, v24, v20
	v_and_or_b32 v11, 0xffe, v27, v11
	v_med3_i32 v27, v7, 0, 13
	v_cndmask_b32_e64 v21, 0, 1, vcc_lo
	v_cmp_eq_u32_e32 vcc_lo, 0x40f, v16
	v_lshrrev_b32_e32 v12, 16, v12
	v_or_b32_e32 v23, 0x1000, v11
	v_cndmask_b32_e32 v16, v8, v17, vcc_lo
	v_lshrrev_b32_e32 v17, 16, v18
	v_or_b32_e32 v18, v25, v21
	v_lshl_or_b32 v21, v22, 12, v5
	v_lshrrev_b32_e32 v25, v27, v23
	v_cmp_gt_i32_e32 vcc_lo, 1, v22
	v_mad_u64_u32 v[7:8], null, s8, 28, v[9:10]
	v_and_or_b32 v24, 0x8000, v17, v16
	v_fma_f16 v16, v2, v19, -v20
	v_cndmask_b32_e32 v18, v21, v18, vcc_lo
	v_lshlrev_b32_e32 v21, v27, v25
	v_mul_f64 v[14:15], v[14:15], s[12:13]
	v_and_b32_e32 v20, 0xffff, v1
	v_mov_b32_e32 v2, v8
	v_and_b32_e32 v19, 7, v18
	v_cmp_ne_u32_e64 s0, v21, v23
	v_cvt_f32_f16_e32 v8, v16
	v_mov_b32_e32 v1, v13
	v_add_nc_u32_e32 v21, 0xfffffc10, v28
	v_cmp_lt_i32_e32 vcc_lo, 5, v19
	v_cndmask_b32_e64 v13, 0, 1, s0
	v_cmp_eq_u32_e64 s0, 3, v19
	v_cvt_f64_f32_e32 v[16:17], v8
	v_lshrrev_b32_e32 v8, 2, v18
	v_lshl_or_b32 v19, v21, 12, v11
	v_or_b32_e32 v18, v25, v13
	s_or_b32 vcc_lo, s0, vcc_lo
	s_waitcnt lgkmcnt(0)
	v_lshrrev_b32_e32 v25, 16, v26
	v_add_co_ci_u32_e32 v8, vcc_lo, 0, v8, vcc_lo
	v_cmp_ne_u32_e32 vcc_lo, 0, v5
	v_lshl_or_b32 v20, v24, 16, v20
	v_and_or_b32 v23, 0x1ff, v15, v14
	v_mad_u64_u32 v[13:14], null, s9, 28, v[2:3]
	v_cndmask_b32_e64 v5, 0, 1, vcc_lo
	v_cmp_gt_i32_e32 vcc_lo, 1, v21
	v_lshl_or_b32 v5, v5, 9, 0x7c00
	v_cndmask_b32_e32 v2, v19, v18, vcc_lo
	v_cmp_gt_i32_e32 vcc_lo, 31, v22
	v_mul_f64 v[16:17], v[16:17], s[12:13]
	v_lshrrev_b32_e32 v18, 8, v15
	v_bfe_u32 v19, v15, 20, 11
	v_lshrrev_b32_e32 v15, 16, v15
	v_cndmask_b32_e32 v8, 0x7c00, v8, vcc_lo
	v_cmp_ne_u32_e32 vcc_lo, 0, v23
	v_and_b32_e32 v23, 7, v2
	v_lshrrev_b32_e32 v2, 2, v2
	v_cndmask_b32_e64 v14, 0, 1, vcc_lo
	v_cmp_eq_u32_e32 vcc_lo, 0x40f, v22
	v_cmp_eq_u32_e64 s0, 3, v23
	v_and_or_b32 v14, 0xffe, v18, v14
	v_mul_f16_sdwa v18, v3, v25 dst_sel:DWORD dst_unused:UNUSED_PAD src0_sel:WORD_1 src1_sel:DWORD
	v_cndmask_b32_e32 v8, v8, v5, vcc_lo
	v_cmp_lt_i32_e32 vcc_lo, 5, v23
	v_mul_f16_sdwa v23, v3, v26 dst_sel:DWORD dst_unused:UNUSED_PAD src0_sel:WORD_1 src1_sel:DWORD
	v_sub_nc_u32_e32 v5, 0x3f1, v19
	v_fmac_f16_e32 v18, v3, v26
	v_lshrrev_b32_e32 v26, 16, v6
	s_or_b32 vcc_lo, s0, vcc_lo
	v_or_b32_e32 v22, 0x1000, v14
	v_med3_i32 v5, v5, 0, 13
	v_cvt_f32_f16_e32 v6, v18
	v_fma_f16 v18, v3, v25, -v23
	v_add_co_ci_u32_e32 v23, vcc_lo, 0, v2, vcc_lo
	v_cmp_ne_u32_e32 vcc_lo, 0, v11
	v_lshrrev_b32_e32 v27, v5, v22
	v_and_or_b32 v16, 0x1ff, v17, v16
	v_cvt_f64_f32_e32 v[2:3], v6
	v_add_nc_u32_e32 v19, 0xfffffc10, v19
	v_cndmask_b32_e64 v11, 0, 1, vcc_lo
	v_cmp_gt_i32_e32 vcc_lo, 31, v21
	v_lshlrev_b32_e32 v25, v5, v27
	v_cvt_f32_f16_e32 v5, v18
	v_bfe_u32 v28, v17, 20, 11
	v_lshl_or_b32 v11, v11, 9, 0x7c00
	v_cndmask_b32_e32 v18, 0x7c00, v23, vcc_lo
	v_cmp_ne_u32_e32 vcc_lo, 0, v16
	v_cvt_f64_f32_e32 v[5:6], v5
	v_lshrrev_b32_e32 v23, 8, v17
	v_and_or_b32 v8, 0x8000, v26, v8
	v_cndmask_b32_e64 v16, 0, 1, vcc_lo
	v_cmp_ne_u32_e32 vcc_lo, v25, v22
	v_lshl_or_b32 v25, v19, 12, v14
	v_and_or_b32 v16, 0xffe, v23, v16
	v_cndmask_b32_e64 v22, 0, 1, vcc_lo
	v_cmp_gt_i32_e32 vcc_lo, 1, v19
	v_mul_f64 v[2:3], v[2:3], s[12:13]
	v_sub_nc_u32_e32 v23, 0x3f1, v28
	v_or_b32_e32 v22, v27, v22
	v_or_b32_e32 v27, 0x1000, v16
	v_med3_i32 v23, v23, 0, 13
	v_cndmask_b32_e32 v22, v25, v22, vcc_lo
	v_cmp_eq_u32_e32 vcc_lo, 0x40f, v21
	v_mul_f64 v[5:6], v[5:6], s[12:13]
	v_and_b32_e32 v21, 7, v22
	v_cndmask_b32_e32 v11, v18, v11, vcc_lo
	v_lshrrev_b32_e32 v18, v23, v27
	v_cmp_lt_i32_e32 vcc_lo, 5, v21
	v_and_or_b32 v11, 0x8000, v12, v11
	v_and_b32_e32 v12, 0xffff, v8
	v_cmp_eq_u32_e64 s0, 3, v21
	v_lshlrev_b32_e32 v23, v23, v18
	v_and_or_b32 v2, 0x1ff, v3, v2
	v_mov_b32_e32 v8, v13
	v_lshl_or_b32 v21, v11, 16, v12
	v_lshrrev_b32_e32 v11, 2, v22
	s_or_b32 vcc_lo, s0, vcc_lo
	v_cmp_ne_u32_e64 s1, v23, v27
	v_add_nc_u32_e32 v13, 0xfffffc10, v28
	v_lshrrev_b32_e32 v22, 8, v3
	v_add_co_ci_u32_e32 v11, vcc_lo, 0, v11, vcc_lo
	v_cmp_ne_u32_e32 vcc_lo, 0, v14
	v_cndmask_b32_e64 v12, 0, 1, s1
	v_bfe_u32 v23, v3, 20, 11
	v_and_or_b32 v5, 0x1ff, v6, v5
	v_bfe_u32 v24, v6, 20, 11
	v_cndmask_b32_e64 v14, 0, 1, vcc_lo
	v_cmp_ne_u32_e32 vcc_lo, 0, v2
	v_or_b32_e32 v12, v18, v12
	v_lshl_or_b32 v18, v13, 12, v16
	v_lshrrev_b32_e32 v3, 16, v3
	v_lshl_or_b32 v14, v14, 9, 0x7c00
	v_cndmask_b32_e64 v2, 0, 1, vcc_lo
	v_cmp_gt_i32_e32 vcc_lo, 1, v13
	v_and_or_b32 v2, 0xffe, v22, v2
	v_cndmask_b32_e32 v12, v18, v12, vcc_lo
	v_sub_nc_u32_e32 v18, 0x3f1, v23
	v_cmp_ne_u32_e32 vcc_lo, 0, v5
	v_lshrrev_b32_e32 v22, 8, v6
	v_or_b32_e32 v26, 0x1000, v2
	v_and_b32_e32 v25, 7, v12
	v_med3_i32 v18, v18, 0, 13
	v_cndmask_b32_e64 v5, 0, 1, vcc_lo
	v_cmp_gt_i32_e32 vcc_lo, 31, v19
	v_lshrrev_b32_e32 v12, 2, v12
	v_cmp_eq_u32_e64 s0, 3, v25
	v_lshrrev_b32_e32 v28, v18, v26
	v_and_or_b32 v5, 0xffe, v22, v5
	v_cndmask_b32_e32 v11, 0x7c00, v11, vcc_lo
	v_cmp_lt_i32_e32 vcc_lo, 5, v25
	v_sub_nc_u32_e32 v22, 0x3f1, v24
	v_lshlrev_b32_e32 v18, v18, v28
	v_or_b32_e32 v27, 0x1000, v5
	v_add_nc_u32_e32 v23, 0xfffffc10, v23
	s_or_b32 vcc_lo, s0, vcc_lo
	v_med3_i32 v22, v22, 0, 13
	v_add_co_ci_u32_e32 v12, vcc_lo, 0, v12, vcc_lo
	v_cmp_ne_u32_e32 vcc_lo, v18, v26
	v_lshl_or_b32 v26, v23, 12, v2
	v_lshrrev_b32_e32 v25, v22, v27
	v_add_nc_u32_e32 v24, 0xfffffc10, v24
	v_cndmask_b32_e64 v18, 0, 1, vcc_lo
	v_cmp_gt_i32_e32 vcc_lo, 31, v13
	v_lshlrev_b32_e32 v22, v22, v25
	v_or_b32_e32 v18, v28, v18
	v_cndmask_b32_e32 v12, 0x7c00, v12, vcc_lo
	v_cmp_ne_u32_e32 vcc_lo, 0, v16
	v_cndmask_b32_e64 v16, 0, 1, vcc_lo
	v_cmp_ne_u32_e32 vcc_lo, v22, v27
	v_lshl_or_b32 v16, v16, 9, 0x7c00
	v_cndmask_b32_e64 v22, 0, 1, vcc_lo
	v_cmp_eq_u32_e32 vcc_lo, 0x40f, v19
	v_or_b32_e32 v22, v25, v22
	v_cndmask_b32_e32 v11, v11, v14, vcc_lo
	v_cmp_gt_i32_e32 vcc_lo, 1, v23
	v_lshl_or_b32 v25, v24, 12, v5
	v_and_or_b32 v15, 0x8000, v15, v11
	v_cndmask_b32_e32 v14, v26, v18, vcc_lo
	v_cmp_eq_u32_e32 vcc_lo, 0x40f, v13
	v_and_b32_e32 v15, 0xffff, v15
	v_cndmask_b32_e32 v12, v12, v16, vcc_lo
	v_cmp_gt_i32_e32 vcc_lo, 1, v24
	v_lshrrev_b32_e32 v16, 16, v17
	v_and_b32_e32 v17, 7, v14
	v_cndmask_b32_e32 v13, v25, v22, vcc_lo
	v_and_or_b32 v16, 0x8000, v16, v12
	v_cmp_lt_i32_e32 vcc_lo, 5, v17
	v_cmp_eq_u32_e64 s0, 3, v17
	v_lshrrev_b32_e32 v12, 2, v14
	v_and_b32_e32 v11, 7, v13
	s_or_b32 vcc_lo, s0, vcc_lo
	v_cmp_lt_i32_e64 s1, 5, v11
	v_cmp_eq_u32_e64 s2, 3, v11
	v_lshrrev_b32_e32 v11, 2, v13
	v_add_co_ci_u32_e32 v13, vcc_lo, 0, v12, vcc_lo
	v_cmp_ne_u32_e32 vcc_lo, 0, v2
	v_cndmask_b32_e64 v2, 0, 1, vcc_lo
	s_or_b32 vcc_lo, s2, s1
	v_add_co_ci_u32_e32 v14, vcc_lo, 0, v11, vcc_lo
	v_cmp_ne_u32_e32 vcc_lo, 0, v5
	v_lshl_or_b32 v2, v2, 9, 0x7c00
	v_mad_u64_u32 v[11:12], null, s8, 36, v[9:10]
	v_cndmask_b32_e64 v5, 0, 1, vcc_lo
	v_cmp_gt_i32_e32 vcc_lo, 31, v23
	v_lshl_or_b32 v5, v5, 9, 0x7c00
	v_cndmask_b32_e32 v17, 0x7c00, v13, vcc_lo
	v_cmp_gt_i32_e32 vcc_lo, 31, v24
	v_cndmask_b32_e32 v18, 0x7c00, v14, vcc_lo
	v_cmp_eq_u32_e32 vcc_lo, 0x40f, v23
	v_mad_u64_u32 v[13:14], null, s8, 40, v[9:10]
	v_cndmask_b32_e32 v17, v17, v2, vcc_lo
	v_cmp_eq_u32_e32 vcc_lo, 0x40f, v24
	v_mov_b32_e32 v2, v12
	v_and_or_b32 v17, 0x8000, v3, v17
	v_mov_b32_e32 v3, v14
	v_cndmask_b32_e32 v12, v18, v5, vcc_lo
	v_lshrrev_b32_e32 v18, 16, v6
	v_add_co_u32 v9, vcc_lo, v9, s4
	v_mad_u64_u32 v[5:6], null, s9, 36, v[2:3]
	v_mad_u64_u32 v[2:3], null, s9, 40, v[3:4]
	v_and_or_b32 v6, 0x8000, v18, v12
	v_and_b32_e32 v14, 0xffff, v17
	v_add_co_ci_u32_e32 v10, vcc_lo, s5, v10, vcc_lo
	v_lshl_or_b32 v3, v16, 16, v15
	v_mov_b32_e32 v12, v5
	v_lshl_or_b32 v5, v6, 16, v14
	v_mov_b32_e32 v14, v2
	global_store_dword v[0:1], v4, off
	global_store_dword v[7:8], v20, off
	;; [unrolled: 1-line block ×5, first 2 shown]
.LBB0_2:
	s_endpgm
	.section	.rodata,"a",@progbits
	.p2align	6, 0x0
	.amdhsa_kernel bluestein_single_fwd_len11_dim1_half_op_CI_CI
		.amdhsa_group_segment_fixed_size 5632
		.amdhsa_private_segment_fixed_size 0
		.amdhsa_kernarg_size 104
		.amdhsa_user_sgpr_count 6
		.amdhsa_user_sgpr_private_segment_buffer 1
		.amdhsa_user_sgpr_dispatch_ptr 0
		.amdhsa_user_sgpr_queue_ptr 0
		.amdhsa_user_sgpr_kernarg_segment_ptr 1
		.amdhsa_user_sgpr_dispatch_id 0
		.amdhsa_user_sgpr_flat_scratch_init 0
		.amdhsa_user_sgpr_private_segment_size 0
		.amdhsa_wavefront_size32 1
		.amdhsa_uses_dynamic_stack 0
		.amdhsa_system_sgpr_private_segment_wavefront_offset 0
		.amdhsa_system_sgpr_workgroup_id_x 1
		.amdhsa_system_sgpr_workgroup_id_y 0
		.amdhsa_system_sgpr_workgroup_id_z 0
		.amdhsa_system_sgpr_workgroup_info 0
		.amdhsa_system_vgpr_workitem_id 0
		.amdhsa_next_free_vgpr 125
		.amdhsa_next_free_sgpr 16
		.amdhsa_reserve_vcc 1
		.amdhsa_reserve_flat_scratch 0
		.amdhsa_float_round_mode_32 0
		.amdhsa_float_round_mode_16_64 0
		.amdhsa_float_denorm_mode_32 3
		.amdhsa_float_denorm_mode_16_64 3
		.amdhsa_dx10_clamp 1
		.amdhsa_ieee_mode 1
		.amdhsa_fp16_overflow 0
		.amdhsa_workgroup_processor_mode 1
		.amdhsa_memory_ordered 1
		.amdhsa_forward_progress 0
		.amdhsa_shared_vgpr_count 0
		.amdhsa_exception_fp_ieee_invalid_op 0
		.amdhsa_exception_fp_denorm_src 0
		.amdhsa_exception_fp_ieee_div_zero 0
		.amdhsa_exception_fp_ieee_overflow 0
		.amdhsa_exception_fp_ieee_underflow 0
		.amdhsa_exception_fp_ieee_inexact 0
		.amdhsa_exception_int_div_zero 0
	.end_amdhsa_kernel
	.text
.Lfunc_end0:
	.size	bluestein_single_fwd_len11_dim1_half_op_CI_CI, .Lfunc_end0-bluestein_single_fwd_len11_dim1_half_op_CI_CI
                                        ; -- End function
	.section	.AMDGPU.csdata,"",@progbits
; Kernel info:
; codeLenInByte = 12428
; NumSgprs: 18
; NumVgprs: 125
; ScratchSize: 0
; MemoryBound: 0
; FloatMode: 240
; IeeeMode: 1
; LDSByteSize: 5632 bytes/workgroup (compile time only)
; SGPRBlocks: 2
; VGPRBlocks: 15
; NumSGPRsForWavesPerEU: 18
; NumVGPRsForWavesPerEU: 125
; Occupancy: 8
; WaveLimiterHint : 1
; COMPUTE_PGM_RSRC2:SCRATCH_EN: 0
; COMPUTE_PGM_RSRC2:USER_SGPR: 6
; COMPUTE_PGM_RSRC2:TRAP_HANDLER: 0
; COMPUTE_PGM_RSRC2:TGID_X_EN: 1
; COMPUTE_PGM_RSRC2:TGID_Y_EN: 0
; COMPUTE_PGM_RSRC2:TGID_Z_EN: 0
; COMPUTE_PGM_RSRC2:TIDIG_COMP_CNT: 0
	.text
	.p2alignl 6, 3214868480
	.fill 48, 4, 3214868480
	.type	__hip_cuid_108fbb5640492256,@object ; @__hip_cuid_108fbb5640492256
	.section	.bss,"aw",@nobits
	.globl	__hip_cuid_108fbb5640492256
__hip_cuid_108fbb5640492256:
	.byte	0                               ; 0x0
	.size	__hip_cuid_108fbb5640492256, 1

	.ident	"AMD clang version 19.0.0git (https://github.com/RadeonOpenCompute/llvm-project roc-6.4.0 25133 c7fe45cf4b819c5991fe208aaa96edf142730f1d)"
	.section	".note.GNU-stack","",@progbits
	.addrsig
	.addrsig_sym __hip_cuid_108fbb5640492256
	.amdgpu_metadata
---
amdhsa.kernels:
  - .args:
      - .actual_access:  read_only
        .address_space:  global
        .offset:         0
        .size:           8
        .value_kind:     global_buffer
      - .actual_access:  read_only
        .address_space:  global
        .offset:         8
        .size:           8
        .value_kind:     global_buffer
      - .actual_access:  read_only
        .address_space:  global
        .offset:         16
        .size:           8
        .value_kind:     global_buffer
      - .actual_access:  read_only
        .address_space:  global
        .offset:         24
        .size:           8
        .value_kind:     global_buffer
      - .actual_access:  read_only
        .address_space:  global
        .offset:         32
        .size:           8
        .value_kind:     global_buffer
      - .offset:         40
        .size:           8
        .value_kind:     by_value
      - .address_space:  global
        .offset:         48
        .size:           8
        .value_kind:     global_buffer
      - .address_space:  global
        .offset:         56
        .size:           8
        .value_kind:     global_buffer
      - .address_space:  global
        .offset:         64
        .size:           8
        .value_kind:     global_buffer
      - .address_space:  global
        .offset:         72
        .size:           8
        .value_kind:     global_buffer
      - .offset:         80
        .size:           4
        .value_kind:     by_value
      - .address_space:  global
        .offset:         88
        .size:           8
        .value_kind:     global_buffer
      - .address_space:  global
        .offset:         96
        .size:           8
        .value_kind:     global_buffer
    .group_segment_fixed_size: 5632
    .kernarg_segment_align: 8
    .kernarg_segment_size: 104
    .language:       OpenCL C
    .language_version:
      - 2
      - 0
    .max_flat_workgroup_size: 128
    .name:           bluestein_single_fwd_len11_dim1_half_op_CI_CI
    .private_segment_fixed_size: 0
    .sgpr_count:     18
    .sgpr_spill_count: 0
    .symbol:         bluestein_single_fwd_len11_dim1_half_op_CI_CI.kd
    .uniform_work_group_size: 1
    .uses_dynamic_stack: false
    .vgpr_count:     125
    .vgpr_spill_count: 0
    .wavefront_size: 32
    .workgroup_processor_mode: 1
amdhsa.target:   amdgcn-amd-amdhsa--gfx1030
amdhsa.version:
  - 1
  - 2
...

	.end_amdgpu_metadata
